;; amdgpu-corpus repo=ROCm/rocFFT kind=compiled arch=gfx1201 opt=O3
	.text
	.amdgcn_target "amdgcn-amd-amdhsa--gfx1201"
	.amdhsa_code_object_version 6
	.protected	fft_rtc_fwd_len3240_factors_3_3_10_6_6_wgs_108_tpt_108_halfLds_sp_op_CI_CI_unitstride_sbrr_R2C_dirReg ; -- Begin function fft_rtc_fwd_len3240_factors_3_3_10_6_6_wgs_108_tpt_108_halfLds_sp_op_CI_CI_unitstride_sbrr_R2C_dirReg
	.globl	fft_rtc_fwd_len3240_factors_3_3_10_6_6_wgs_108_tpt_108_halfLds_sp_op_CI_CI_unitstride_sbrr_R2C_dirReg
	.p2align	8
	.type	fft_rtc_fwd_len3240_factors_3_3_10_6_6_wgs_108_tpt_108_halfLds_sp_op_CI_CI_unitstride_sbrr_R2C_dirReg,@function
fft_rtc_fwd_len3240_factors_3_3_10_6_6_wgs_108_tpt_108_halfLds_sp_op_CI_CI_unitstride_sbrr_R2C_dirReg: ; @fft_rtc_fwd_len3240_factors_3_3_10_6_6_wgs_108_tpt_108_halfLds_sp_op_CI_CI_unitstride_sbrr_R2C_dirReg
; %bb.0:
	s_clause 0x2
	s_load_b128 s[8:11], s[0:1], 0x0
	s_load_b128 s[4:7], s[0:1], 0x58
	;; [unrolled: 1-line block ×3, first 2 shown]
	v_mul_u32_u24_e32 v1, 0x25f, v0
	v_mov_b32_e32 v3, 0
	s_delay_alu instid0(VALU_DEP_2) | instskip(NEXT) | instid1(VALU_DEP_1)
	v_lshrrev_b32_e32 v1, 16, v1
	v_add_nc_u32_e32 v5, ttmp9, v1
	v_mov_b32_e32 v1, 0
	v_mov_b32_e32 v2, 0
	;; [unrolled: 1-line block ×3, first 2 shown]
	s_wait_kmcnt 0x0
	v_cmp_lt_u64_e64 s2, s[10:11], 2
	s_delay_alu instid0(VALU_DEP_1)
	s_and_b32 vcc_lo, exec_lo, s2
	s_cbranch_vccnz .LBB0_8
; %bb.1:
	s_load_b64 s[2:3], s[0:1], 0x10
	v_mov_b32_e32 v1, 0
	v_mov_b32_e32 v2, 0
	s_add_nc_u64 s[16:17], s[14:15], 8
	s_add_nc_u64 s[18:19], s[12:13], 8
	s_mov_b64 s[20:21], 1
	s_delay_alu instid0(VALU_DEP_1)
	v_dual_mov_b32 v55, v2 :: v_dual_mov_b32 v54, v1
	s_wait_kmcnt 0x0
	s_add_nc_u64 s[22:23], s[2:3], 8
	s_mov_b32 s3, 0
.LBB0_2:                                ; =>This Inner Loop Header: Depth=1
	s_load_b64 s[24:25], s[22:23], 0x0
                                        ; implicit-def: $vgpr58_vgpr59
	s_mov_b32 s2, exec_lo
	s_wait_kmcnt 0x0
	v_or_b32_e32 v4, s25, v6
	s_delay_alu instid0(VALU_DEP_1)
	v_cmpx_ne_u64_e32 0, v[3:4]
	s_wait_alu 0xfffe
	s_xor_b32 s26, exec_lo, s2
	s_cbranch_execz .LBB0_4
; %bb.3:                                ;   in Loop: Header=BB0_2 Depth=1
	s_cvt_f32_u32 s2, s24
	s_cvt_f32_u32 s27, s25
	s_sub_nc_u64 s[30:31], 0, s[24:25]
	s_wait_alu 0xfffe
	s_delay_alu instid0(SALU_CYCLE_1) | instskip(SKIP_1) | instid1(SALU_CYCLE_2)
	s_fmamk_f32 s2, s27, 0x4f800000, s2
	s_wait_alu 0xfffe
	v_s_rcp_f32 s2, s2
	s_delay_alu instid0(TRANS32_DEP_1) | instskip(SKIP_1) | instid1(SALU_CYCLE_2)
	s_mul_f32 s2, s2, 0x5f7ffffc
	s_wait_alu 0xfffe
	s_mul_f32 s27, s2, 0x2f800000
	s_wait_alu 0xfffe
	s_delay_alu instid0(SALU_CYCLE_2) | instskip(SKIP_1) | instid1(SALU_CYCLE_2)
	s_trunc_f32 s27, s27
	s_wait_alu 0xfffe
	s_fmamk_f32 s2, s27, 0xcf800000, s2
	s_cvt_u32_f32 s29, s27
	s_wait_alu 0xfffe
	s_delay_alu instid0(SALU_CYCLE_1) | instskip(SKIP_1) | instid1(SALU_CYCLE_2)
	s_cvt_u32_f32 s28, s2
	s_wait_alu 0xfffe
	s_mul_u64 s[34:35], s[30:31], s[28:29]
	s_wait_alu 0xfffe
	s_mul_hi_u32 s37, s28, s35
	s_mul_i32 s36, s28, s35
	s_mul_hi_u32 s2, s28, s34
	s_mul_i32 s33, s29, s34
	s_wait_alu 0xfffe
	s_add_nc_u64 s[36:37], s[2:3], s[36:37]
	s_mul_hi_u32 s27, s29, s34
	s_mul_hi_u32 s38, s29, s35
	s_add_co_u32 s2, s36, s33
	s_wait_alu 0xfffe
	s_add_co_ci_u32 s2, s37, s27
	s_mul_i32 s34, s29, s35
	s_add_co_ci_u32 s35, s38, 0
	s_wait_alu 0xfffe
	s_add_nc_u64 s[34:35], s[2:3], s[34:35]
	s_wait_alu 0xfffe
	v_add_co_u32 v4, s2, s28, s34
	s_delay_alu instid0(VALU_DEP_1) | instskip(SKIP_1) | instid1(VALU_DEP_1)
	s_cmp_lg_u32 s2, 0
	s_add_co_ci_u32 s29, s29, s35
	v_readfirstlane_b32 s28, v4
	s_wait_alu 0xfffe
	s_delay_alu instid0(VALU_DEP_1)
	s_mul_u64 s[30:31], s[30:31], s[28:29]
	s_wait_alu 0xfffe
	s_mul_hi_u32 s35, s28, s31
	s_mul_i32 s34, s28, s31
	s_mul_hi_u32 s2, s28, s30
	s_mul_i32 s33, s29, s30
	s_wait_alu 0xfffe
	s_add_nc_u64 s[34:35], s[2:3], s[34:35]
	s_mul_hi_u32 s27, s29, s30
	s_mul_hi_u32 s28, s29, s31
	s_wait_alu 0xfffe
	s_add_co_u32 s2, s34, s33
	s_add_co_ci_u32 s2, s35, s27
	s_mul_i32 s30, s29, s31
	s_add_co_ci_u32 s31, s28, 0
	s_wait_alu 0xfffe
	s_add_nc_u64 s[30:31], s[2:3], s[30:31]
	s_wait_alu 0xfffe
	v_add_co_u32 v4, s2, v4, s30
	s_delay_alu instid0(VALU_DEP_1) | instskip(SKIP_1) | instid1(VALU_DEP_1)
	s_cmp_lg_u32 s2, 0
	s_add_co_ci_u32 s2, s29, s31
	v_mul_hi_u32 v13, v5, v4
	s_wait_alu 0xfffe
	v_mad_co_u64_u32 v[7:8], null, v5, s2, 0
	v_mad_co_u64_u32 v[9:10], null, v6, v4, 0
	;; [unrolled: 1-line block ×3, first 2 shown]
	s_delay_alu instid0(VALU_DEP_3) | instskip(SKIP_1) | instid1(VALU_DEP_4)
	v_add_co_u32 v4, vcc_lo, v13, v7
	s_wait_alu 0xfffd
	v_add_co_ci_u32_e32 v7, vcc_lo, 0, v8, vcc_lo
	s_delay_alu instid0(VALU_DEP_2) | instskip(SKIP_1) | instid1(VALU_DEP_2)
	v_add_co_u32 v4, vcc_lo, v4, v9
	s_wait_alu 0xfffd
	v_add_co_ci_u32_e32 v4, vcc_lo, v7, v10, vcc_lo
	s_wait_alu 0xfffd
	v_add_co_ci_u32_e32 v7, vcc_lo, 0, v12, vcc_lo
	s_delay_alu instid0(VALU_DEP_2) | instskip(SKIP_1) | instid1(VALU_DEP_2)
	v_add_co_u32 v4, vcc_lo, v4, v11
	s_wait_alu 0xfffd
	v_add_co_ci_u32_e32 v9, vcc_lo, 0, v7, vcc_lo
	s_delay_alu instid0(VALU_DEP_2) | instskip(SKIP_1) | instid1(VALU_DEP_3)
	v_mul_lo_u32 v10, s25, v4
	v_mad_co_u64_u32 v[7:8], null, s24, v4, 0
	v_mul_lo_u32 v11, s24, v9
	s_delay_alu instid0(VALU_DEP_2) | instskip(NEXT) | instid1(VALU_DEP_2)
	v_sub_co_u32 v7, vcc_lo, v5, v7
	v_add3_u32 v8, v8, v11, v10
	s_delay_alu instid0(VALU_DEP_1) | instskip(SKIP_1) | instid1(VALU_DEP_1)
	v_sub_nc_u32_e32 v10, v6, v8
	s_wait_alu 0xfffd
	v_subrev_co_ci_u32_e64 v10, s2, s25, v10, vcc_lo
	v_add_co_u32 v11, s2, v4, 2
	s_wait_alu 0xf1ff
	v_add_co_ci_u32_e64 v12, s2, 0, v9, s2
	v_sub_co_u32 v13, s2, v7, s24
	v_sub_co_ci_u32_e32 v8, vcc_lo, v6, v8, vcc_lo
	s_wait_alu 0xf1ff
	v_subrev_co_ci_u32_e64 v10, s2, 0, v10, s2
	s_delay_alu instid0(VALU_DEP_3) | instskip(NEXT) | instid1(VALU_DEP_3)
	v_cmp_le_u32_e32 vcc_lo, s24, v13
	v_cmp_eq_u32_e64 s2, s25, v8
	s_wait_alu 0xfffd
	v_cndmask_b32_e64 v13, 0, -1, vcc_lo
	v_cmp_le_u32_e32 vcc_lo, s25, v10
	s_wait_alu 0xfffd
	v_cndmask_b32_e64 v14, 0, -1, vcc_lo
	v_cmp_le_u32_e32 vcc_lo, s24, v7
	;; [unrolled: 3-line block ×3, first 2 shown]
	s_wait_alu 0xfffd
	v_cndmask_b32_e64 v15, 0, -1, vcc_lo
	v_cmp_eq_u32_e32 vcc_lo, s25, v10
	s_wait_alu 0xf1ff
	s_delay_alu instid0(VALU_DEP_2)
	v_cndmask_b32_e64 v7, v15, v7, s2
	s_wait_alu 0xfffd
	v_cndmask_b32_e32 v10, v14, v13, vcc_lo
	v_add_co_u32 v13, vcc_lo, v4, 1
	s_wait_alu 0xfffd
	v_add_co_ci_u32_e32 v14, vcc_lo, 0, v9, vcc_lo
	s_delay_alu instid0(VALU_DEP_3) | instskip(SKIP_1) | instid1(VALU_DEP_2)
	v_cmp_ne_u32_e32 vcc_lo, 0, v10
	s_wait_alu 0xfffd
	v_cndmask_b32_e32 v8, v14, v12, vcc_lo
	v_cndmask_b32_e32 v10, v13, v11, vcc_lo
	v_cmp_ne_u32_e32 vcc_lo, 0, v7
	s_wait_alu 0xfffd
	s_delay_alu instid0(VALU_DEP_2)
	v_dual_cndmask_b32 v59, v9, v8 :: v_dual_cndmask_b32 v58, v4, v10
.LBB0_4:                                ;   in Loop: Header=BB0_2 Depth=1
	s_wait_alu 0xfffe
	s_and_not1_saveexec_b32 s2, s26
	s_cbranch_execz .LBB0_6
; %bb.5:                                ;   in Loop: Header=BB0_2 Depth=1
	v_cvt_f32_u32_e32 v4, s24
	s_sub_co_i32 s26, 0, s24
	v_mov_b32_e32 v59, v3
	s_delay_alu instid0(VALU_DEP_2) | instskip(NEXT) | instid1(TRANS32_DEP_1)
	v_rcp_iflag_f32_e32 v4, v4
	v_mul_f32_e32 v4, 0x4f7ffffe, v4
	s_delay_alu instid0(VALU_DEP_1) | instskip(SKIP_1) | instid1(VALU_DEP_1)
	v_cvt_u32_f32_e32 v4, v4
	s_wait_alu 0xfffe
	v_mul_lo_u32 v7, s26, v4
	s_delay_alu instid0(VALU_DEP_1) | instskip(NEXT) | instid1(VALU_DEP_1)
	v_mul_hi_u32 v7, v4, v7
	v_add_nc_u32_e32 v4, v4, v7
	s_delay_alu instid0(VALU_DEP_1) | instskip(NEXT) | instid1(VALU_DEP_1)
	v_mul_hi_u32 v4, v5, v4
	v_mul_lo_u32 v7, v4, s24
	v_add_nc_u32_e32 v8, 1, v4
	s_delay_alu instid0(VALU_DEP_2) | instskip(NEXT) | instid1(VALU_DEP_1)
	v_sub_nc_u32_e32 v7, v5, v7
	v_subrev_nc_u32_e32 v9, s24, v7
	v_cmp_le_u32_e32 vcc_lo, s24, v7
	s_wait_alu 0xfffd
	s_delay_alu instid0(VALU_DEP_2) | instskip(NEXT) | instid1(VALU_DEP_1)
	v_dual_cndmask_b32 v7, v7, v9 :: v_dual_cndmask_b32 v4, v4, v8
	v_cmp_le_u32_e32 vcc_lo, s24, v7
	s_delay_alu instid0(VALU_DEP_2) | instskip(SKIP_1) | instid1(VALU_DEP_1)
	v_add_nc_u32_e32 v8, 1, v4
	s_wait_alu 0xfffd
	v_cndmask_b32_e32 v58, v4, v8, vcc_lo
.LBB0_6:                                ;   in Loop: Header=BB0_2 Depth=1
	s_wait_alu 0xfffe
	s_or_b32 exec_lo, exec_lo, s2
	v_mul_lo_u32 v4, v59, s24
	s_delay_alu instid0(VALU_DEP_2)
	v_mul_lo_u32 v9, v58, s25
	s_load_b64 s[26:27], s[18:19], 0x0
	v_mad_co_u64_u32 v[7:8], null, v58, s24, 0
	s_load_b64 s[24:25], s[16:17], 0x0
	s_add_nc_u64 s[20:21], s[20:21], 1
	s_add_nc_u64 s[16:17], s[16:17], 8
	s_wait_alu 0xfffe
	v_cmp_ge_u64_e64 s2, s[20:21], s[10:11]
	s_add_nc_u64 s[18:19], s[18:19], 8
	s_add_nc_u64 s[22:23], s[22:23], 8
	v_add3_u32 v4, v8, v9, v4
	v_sub_co_u32 v5, vcc_lo, v5, v7
	s_wait_alu 0xfffd
	s_delay_alu instid0(VALU_DEP_2) | instskip(SKIP_2) | instid1(VALU_DEP_1)
	v_sub_co_ci_u32_e32 v4, vcc_lo, v6, v4, vcc_lo
	s_and_b32 vcc_lo, exec_lo, s2
	s_wait_kmcnt 0x0
	v_mul_lo_u32 v6, s26, v4
	v_mul_lo_u32 v7, s27, v5
	v_mad_co_u64_u32 v[1:2], null, s26, v5, v[1:2]
	v_mul_lo_u32 v4, s24, v4
	v_mul_lo_u32 v8, s25, v5
	v_mad_co_u64_u32 v[54:55], null, s24, v5, v[54:55]
	s_delay_alu instid0(VALU_DEP_4) | instskip(NEXT) | instid1(VALU_DEP_2)
	v_add3_u32 v2, v7, v2, v6
	v_add3_u32 v55, v8, v55, v4
	s_wait_alu 0xfffe
	s_cbranch_vccnz .LBB0_9
; %bb.7:                                ;   in Loop: Header=BB0_2 Depth=1
	v_dual_mov_b32 v5, v58 :: v_dual_mov_b32 v6, v59
	s_branch .LBB0_2
.LBB0_8:
	v_dual_mov_b32 v55, v2 :: v_dual_mov_b32 v54, v1
	v_dual_mov_b32 v59, v6 :: v_dual_mov_b32 v58, v5
.LBB0_9:
	s_load_b64 s[0:1], s[0:1], 0x28
	v_mul_hi_u32 v3, 0x25ed098, v0
	s_lshl_b64 s[10:11], s[10:11], 3
                                        ; implicit-def: $vgpr52
                                        ; implicit-def: $vgpr56
                                        ; implicit-def: $vgpr67
                                        ; implicit-def: $vgpr66
                                        ; implicit-def: $vgpr65
                                        ; implicit-def: $vgpr64
                                        ; implicit-def: $vgpr63
                                        ; implicit-def: $vgpr62
                                        ; implicit-def: $vgpr61
                                        ; implicit-def: $vgpr60
	s_wait_kmcnt 0x0
	v_cmp_gt_u64_e32 vcc_lo, s[0:1], v[58:59]
	v_cmp_le_u64_e64 s0, s[0:1], v[58:59]
	s_delay_alu instid0(VALU_DEP_1)
	s_and_saveexec_b32 s1, s0
	s_wait_alu 0xfffe
	s_xor_b32 s0, exec_lo, s1
; %bb.10:
	v_mul_u32_u24_e32 v1, 0x6c, v3
                                        ; implicit-def: $vgpr3
	s_delay_alu instid0(VALU_DEP_1) | instskip(NEXT) | instid1(VALU_DEP_1)
	v_sub_nc_u32_e32 v52, v0, v1
                                        ; implicit-def: $vgpr0
                                        ; implicit-def: $vgpr1_vgpr2
	v_add_nc_u32_e32 v56, 0x6c, v52
	v_add_nc_u32_e32 v67, 0xd8, v52
	;; [unrolled: 1-line block ×9, first 2 shown]
; %bb.11:
	s_wait_alu 0xfffe
	s_or_saveexec_b32 s1, s0
	s_add_nc_u64 s[2:3], s[14:15], s[10:11]
	s_wait_alu 0xfffe
	s_xor_b32 exec_lo, exec_lo, s1
	s_cbranch_execz .LBB0_13
; %bb.12:
	s_add_nc_u64 s[10:11], s[12:13], s[10:11]
	v_lshlrev_b64_e32 v[1:2], 3, v[1:2]
	s_load_b64 s[10:11], s[10:11], 0x0
	s_wait_kmcnt 0x0
	v_mul_lo_u32 v6, s11, v58
	v_mul_lo_u32 v7, s10, v59
	v_mad_co_u64_u32 v[4:5], null, s10, v58, 0
	s_delay_alu instid0(VALU_DEP_1) | instskip(SKIP_1) | instid1(VALU_DEP_2)
	v_add3_u32 v5, v5, v7, v6
	v_mul_u32_u24_e32 v6, 0x6c, v3
	v_lshlrev_b64_e32 v[3:4], 3, v[4:5]
	s_delay_alu instid0(VALU_DEP_2) | instskip(NEXT) | instid1(VALU_DEP_1)
	v_sub_nc_u32_e32 v52, v0, v6
	v_lshlrev_b32_e32 v53, 3, v52
	s_delay_alu instid0(VALU_DEP_3) | instskip(SKIP_1) | instid1(VALU_DEP_4)
	v_add_co_u32 v0, s0, s4, v3
	s_wait_alu 0xf1ff
	v_add_co_ci_u32_e64 v3, s0, s5, v4, s0
	v_add_nc_u32_e32 v56, 0x6c, v52
	s_delay_alu instid0(VALU_DEP_3) | instskip(SKIP_1) | instid1(VALU_DEP_3)
	v_add_co_u32 v0, s0, v0, v1
	s_wait_alu 0xf1ff
	v_add_co_ci_u32_e64 v1, s0, v3, v2, s0
	v_add_nc_u32_e32 v67, 0xd8, v52
	s_delay_alu instid0(VALU_DEP_3) | instskip(SKIP_1) | instid1(VALU_DEP_3)
	v_add_co_u32 v0, s0, v0, v53
	s_wait_alu 0xf1ff
	v_add_co_ci_u32_e64 v1, s0, 0, v1, s0
	s_clause 0x1d
	global_load_b64 v[2:3], v[0:1], off
	global_load_b64 v[4:5], v[0:1], off offset:864
	global_load_b64 v[6:7], v[0:1], off offset:1728
	;; [unrolled: 1-line block ×29, first 2 shown]
	v_add_nc_u32_e32 v53, 0, v53
	v_add_nc_u32_e32 v66, 0x144, v52
	;; [unrolled: 1-line block ×22, first 2 shown]
	s_wait_loadcnt 0x1c
	ds_store_2addr_b64 v53, v[2:3], v[4:5] offset1:108
	s_wait_loadcnt 0x1a
	ds_store_2addr_b64 v57, v[6:7], v[8:9] offset0:88 offset1:196
	s_wait_loadcnt 0x18
	ds_store_2addr_b64 v76, v[10:11], v[12:13] offset0:48 offset1:156
	;; [unrolled: 2-line block ×14, first 2 shown]
.LBB0_13:
	s_or_b32 exec_lo, exec_lo, s1
	v_lshlrev_b32_e32 v53, 3, v52
	s_load_b64 s[2:3], s[2:3], 0x0
	global_wb scope:SCOPE_SE
	s_wait_dscnt 0x0
	s_wait_kmcnt 0x0
	s_barrier_signal -1
	s_barrier_wait -1
	v_add_nc_u32_e32 v82, 0, v53
	global_inv scope:SCOPE_SE
	v_cmp_gt_u32_e64 s0, 0x5a, v52
	s_mov_b32 s1, exec_lo
	v_add_nc_u32_e32 v97, 0x2000, v82
	v_add_nc_u32_e32 v90, 0x4000, v82
	ds_load_2addr_b64 v[12:15], v82 offset1:108
	ds_load_2addr_b64 v[16:19], v97 offset0:56 offset1:164
	ds_load_2addr_b64 v[20:23], v90 offset0:112 offset1:220
	s_wait_dscnt 0x1
	v_add_f32_e32 v41, v12, v16
	s_wait_dscnt 0x0
	v_dual_add_f32 v51, v16, v20 :: v_dual_add_nc_u32 v0, 0x400, v82
	v_dual_add_f32 v73, v17, v21 :: v_dual_add_nc_u32 v94, 0x2800, v82
	v_dual_sub_f32 v74, v16, v20 :: v_dual_add_nc_u32 v89, 0x4800, v82
	v_add_f32_e32 v42, v13, v17
	v_dual_add_f32 v45, v41, v20 :: v_dual_add_nc_u32 v40, 0xc00, v82
	v_dual_sub_f32 v72, v17, v21 :: v_dual_add_f32 v17, v15, v19
	ds_load_2addr_b64 v[8:11], v0 offset0:88 offset1:196
	ds_load_2addr_b64 v[24:27], v94 offset0:16 offset1:124
	v_dual_sub_f32 v76, v19, v23 :: v_dual_add_nc_u32 v93, 0x2c00, v82
	v_dual_add_f32 v46, v42, v21 :: v_dual_add_nc_u32 v57, 0x5000, v82
	v_dual_add_f32 v77, v19, v23 :: v_dual_add_nc_u32 v98, 0x1000, v82
	ds_load_2addr_b64 v[28:31], v89 offset0:72 offset1:180
	ds_load_2addr_b64 v[4:7], v40 offset0:48 offset1:156
	;; [unrolled: 1-line block ×5, first 2 shown]
	v_add_f32_e32 v16, v14, v18
	v_add_nc_u32_e32 v91, 0x3400, v82
	v_add_nc_u32_e32 v88, 0x5400, v82
	v_dual_add_f32 v75, v18, v22 :: v_dual_add_f32 v48, v17, v23
	v_add_nc_u32_e32 v102, 0x1800, v82
	v_fma_f32 v12, -0.5, v51, v12
	v_fma_f32 v13, -0.5, v73, v13
	s_delay_alu instid0(VALU_DEP_4)
	v_fma_f32 v14, -0.5, v75, v14
	v_add_nc_u32_e32 v101, 0x3c00, v82
	v_fmac_f32_e32 v15, -0.5, v77
	s_wait_dscnt 0x5
	v_add_f32_e32 v17, v9, v25
	s_wait_dscnt 0x4
	v_add_f32_e32 v79, v24, v28
	v_dual_add_f32 v47, v16, v22 :: v_dual_sub_f32 v80, v25, v29
	v_add_f32_e32 v16, v8, v24
	v_sub_f32_e32 v78, v18, v22
	v_dual_add_f32 v50, v17, v29 :: v_dual_sub_f32 v83, v24, v28
	v_add_f32_e32 v81, v25, v29
	s_delay_alu instid0(VALU_DEP_4)
	v_dual_add_f32 v49, v16, v28 :: v_dual_add_f32 v16, v10, v26
	s_wait_dscnt 0x2
	v_dual_add_f32 v24, v11, v27 :: v_dual_add_f32 v25, v4, v32
	v_add_f32_e32 v84, v26, v30
	s_wait_dscnt 0x1
	v_dual_add_f32 v92, v32, v36 :: v_dual_sub_f32 v95, v33, v37
	v_dual_add_f32 v68, v16, v30 :: v_dual_sub_f32 v85, v27, v31
	ds_load_2addr_b64 v[16:19], v91 offset0:64 offset1:172
	ds_load_2addr_b64 v[20:23], v88 offset0:120 offset1:228
	v_dual_add_f32 v69, v24, v31 :: v_dual_add_f32 v24, v5, v33
	v_dual_add_f32 v70, v25, v36 :: v_dual_add_f32 v25, v6, v34
	v_sub_f32_e32 v36, v32, v36
	s_delay_alu instid0(VALU_DEP_3) | instskip(SKIP_3) | instid1(VALU_DEP_3)
	v_dual_add_f32 v71, v24, v37 :: v_dual_add_nc_u32 v100, 0x5c00, v82
	v_dual_add_f32 v37, v33, v37 :: v_dual_add_f32 v24, v7, v35
	v_dual_add_f32 v86, v27, v31 :: v_dual_sub_f32 v87, v26, v30
	v_dual_add_f32 v32, v25, v38 :: v_dual_sub_f32 v99, v35, v39
	v_dual_add_f32 v96, v34, v38 :: v_dual_add_f32 v33, v24, v39
	v_dual_add_f32 v35, v35, v39 :: v_dual_sub_f32 v38, v34, v38
	v_fma_f32 v8, -0.5, v79, v8
	s_wait_dscnt 0x0
	v_dual_add_f32 v34, v0, v16 :: v_dual_add_f32 v105, v17, v21
	v_add_f32_e32 v39, v16, v20
	ds_load_2addr_b64 v[24:27], v102 offset0:96 offset1:204
	ds_load_2addr_b64 v[28:31], v101 offset0:24 offset1:132
	;; [unrolled: 1-line block ×3, first 2 shown]
	v_dual_add_f32 v104, v1, v17 :: v_dual_add_f32 v107, v2, v18
	v_dual_add_f32 v110, v3, v19 :: v_dual_sub_f32 v103, v17, v21
	v_dual_sub_f32 v106, v16, v20 :: v_dual_sub_f32 v109, v19, v23
	v_dual_add_f32 v108, v18, v22 :: v_dual_add_f32 v111, v19, v23
	v_sub_f32_e32 v112, v18, v22
	v_dual_add_f32 v16, v34, v20 :: v_dual_add_f32 v17, v104, v21
	v_dual_add_f32 v18, v107, v22 :: v_dual_add_f32 v19, v110, v23
	v_mad_u32_u24 v34, v52, 24, 0
	global_wb scope:SCOPE_SE
	s_wait_dscnt 0x0
	s_barrier_signal -1
	s_barrier_wait -1
	global_inv scope:SCOPE_SE
	v_dual_add_f32 v20, v24, v28 :: v_dual_add_f32 v23, v27, v31
	v_add_f32_e32 v22, v26, v30
	v_dual_add_f32 v104, v28, v41 :: v_dual_sub_f32 v115, v31, v44
	v_sub_f32_e32 v107, v29, v42
	v_add_f32_e32 v21, v25, v29
	v_dual_add_f32 v110, v29, v42 :: v_dual_sub_f32 v113, v28, v41
	v_dual_add_f32 v20, v20, v41 :: v_dual_fmamk_f32 v29, v74, 0xbf5db3d7, v13
	v_dual_add_f32 v23, v23, v44 :: v_dual_add_f32 v22, v22, v43
	v_dual_fmamk_f32 v28, v72, 0x3f5db3d7, v12 :: v_dual_fmac_f32 v13, 0x3f5db3d7, v74
	v_fmac_f32_e32 v12, 0xbf5db3d7, v72
	v_dual_add_f32 v114, v30, v43 :: v_dual_add_f32 v21, v21, v42
	v_dual_add_f32 v116, v31, v44 :: v_dual_sub_f32 v117, v30, v43
	v_fmamk_f32 v30, v76, 0x3f5db3d7, v14
	v_fmamk_f32 v31, v78, 0xbf5db3d7, v15
	v_fmac_f32_e32 v15, 0x3f5db3d7, v78
	v_mad_i32_i24 v41, v56, 24, 0
	ds_store_2addr_b64 v34, v[45:46], v[28:29] offset1:1
	ds_store_b64 v34, v[12:13] offset:16
	v_fma_f32 v9, -0.5, v81, v9
	v_fma_f32 v28, -0.5, v92, v4
	;; [unrolled: 1-line block ×3, first 2 shown]
	v_fmac_f32_e32 v14, 0xbf5db3d7, v76
	v_fma_f32 v10, -0.5, v84, v10
	v_fmamk_f32 v13, v83, 0xbf5db3d7, v9
	ds_store_2addr_b64 v41, v[47:48], v[30:31] offset1:1
	ds_store_b64 v41, v[14:15] offset:16
	v_dual_fmamk_f32 v12, v80, 0x3f5db3d7, v8 :: v_dual_fmac_f32 v9, 0x3f5db3d7, v83
	v_dual_fmac_f32 v8, 0xbf5db3d7, v80 :: v_dual_fmac_f32 v11, -0.5, v86
	v_fmamk_f32 v30, v95, 0x3f5db3d7, v28
	v_dual_fmac_f32 v28, 0xbf5db3d7, v95 :: v_dual_fmamk_f32 v31, v36, 0xbf5db3d7, v29
	v_fmac_f32_e32 v29, 0x3f5db3d7, v36
	v_fma_f32 v36, -0.5, v39, v0
	v_mad_i32_i24 v0, v67, 24, 0
	v_fmamk_f32 v14, v85, 0x3f5db3d7, v10
	v_dual_fmac_f32 v10, 0xbf5db3d7, v85 :: v_dual_fmamk_f32 v15, v87, 0xbf5db3d7, v11
	v_fma_f32 v37, -0.5, v105, v1
	v_mad_i32_i24 v1, v66, 24, 0
	ds_store_2addr_b64 v0, v[49:50], v[12:13] offset1:1
	ds_store_b64 v0, v[8:9] offset:16
	v_mad_i32_i24 v0, v65, 24, 0
	v_and_b32_e32 v4, 0xff, v52
	v_fmac_f32_e32 v11, 0x3f5db3d7, v87
	v_fma_f32 v2, -0.5, v108, v2
	v_fmac_f32_e32 v3, -0.5, v111
	ds_store_2addr_b64 v1, v[68:69], v[14:15] offset1:1
	ds_store_b64 v1, v[10:11] offset:16
	ds_store_2addr_b64 v0, v[70:71], v[30:31] offset1:1
	ds_store_b64 v0, v[28:29] offset:16
	v_mul_lo_u16 v0, 0xab, v4
	v_fmamk_f32 v41, v109, 0x3f5db3d7, v2
	v_fmac_f32_e32 v2, 0xbf5db3d7, v109
	v_fmamk_f32 v42, v112, 0xbf5db3d7, v3
	v_fmac_f32_e32 v3, 0x3f5db3d7, v112
	v_and_b32_e32 v112, 0xff, v56
	v_lshrrev_b16 v0, 9, v0
	v_fma_f32 v6, -0.5, v96, v6
	v_fmac_f32_e32 v7, -0.5, v35
	v_fmamk_f32 v39, v106, 0xbf5db3d7, v37
	v_mul_lo_u16 v1, 0xab, v112
	v_mul_lo_u16 v5, v0, 3
	v_fmamk_f32 v34, v99, 0x3f5db3d7, v6
	v_dual_fmac_f32 v6, 0xbf5db3d7, v99 :: v_dual_fmamk_f32 v35, v38, 0xbf5db3d7, v7
	s_delay_alu instid0(VALU_DEP_4) | instskip(NEXT) | instid1(VALU_DEP_4)
	v_lshrrev_b16 v10, 9, v1
	v_sub_nc_u16 v1, v52, v5
	v_dual_fmac_f32 v7, 0x3f5db3d7, v38 :: v_dual_fmamk_f32 v38, v103, 0x3f5db3d7, v36
	v_fmac_f32_e32 v36, 0xbf5db3d7, v103
	v_mad_i32_i24 v87, v64, 24, 0
	v_mad_i32_i24 v86, v63, 24, 0
	;; [unrolled: 1-line block ×3, first 2 shown]
	v_and_b32_e32 v1, 0xff, v1
	v_fmac_f32_e32 v37, 0x3f5db3d7, v106
	ds_store_2addr_b64 v87, v[32:33], v[34:35] offset1:1
	ds_store_b64 v87, v[6:7] offset:16
	ds_store_2addr_b64 v86, v[16:17], v[38:39] offset1:1
	ds_store_b64 v86, v[36:37] offset:16
	;; [unrolled: 2-line block ×3, first 2 shown]
	v_mul_lo_u16 v2, v10, 3
	v_and_b32_e32 v111, 0xffff, v67
	v_fma_f32 v24, -0.5, v104, v24
	v_fma_f32 v25, -0.5, v110, v25
	v_and_b32_e32 v110, 0xffff, v66
	v_sub_nc_u16 v2, v56, v2
	v_mul_u32_u24_e32 v3, 0xaaab, v111
	v_fmamk_f32 v43, v107, 0x3f5db3d7, v24
	v_dual_fmac_f32 v24, 0xbf5db3d7, v107 :: v_dual_fmac_f32 v27, -0.5, v116
	v_fma_f32 v26, -0.5, v114, v26
	s_delay_alu instid0(VALU_DEP_4)
	v_lshrrev_b32_e32 v13, 17, v3
	v_mul_u32_u24_e32 v3, 0xaaab, v110
	v_and_b32_e32 v15, 0xff, v2
	v_fmamk_f32 v44, v113, 0xbf5db3d7, v25
	v_fmamk_f32 v45, v115, 0x3f5db3d7, v26
	;; [unrolled: 1-line block ×3, first 2 shown]
	v_mad_i32_i24 v84, v61, 24, 0
	v_mad_i32_i24 v83, v60, 24, 0
	v_lshlrev_b32_e32 v2, 4, v1
	v_fmac_f32_e32 v25, 0x3f5db3d7, v113
	v_fmac_f32_e32 v26, 0xbf5db3d7, v115
	;; [unrolled: 1-line block ×3, first 2 shown]
	v_lshrrev_b32_e32 v11, 17, v3
	v_lshlrev_b32_e32 v3, 4, v15
	ds_store_2addr_b64 v84, v[20:21], v[43:44] offset1:1
	ds_store_b64 v84, v[24:25] offset:16
	ds_store_2addr_b64 v83, v[22:23], v[45:46] offset1:1
	ds_store_b64 v83, v[26:27] offset:16
	global_wb scope:SCOPE_SE
	s_wait_dscnt 0x0
	s_barrier_signal -1
	s_barrier_wait -1
	v_mul_lo_u16 v5, v13, 3
	global_inv scope:SCOPE_SE
	s_clause 0x1
	global_load_b128 v[23:26], v2, s[8:9]
	global_load_b128 v[27:30], v3, s[8:9]
	v_and_b32_e32 v109, 0xffff, v65
	v_mul_lo_u16 v6, v11, 3
	v_sub_nc_u16 v5, v67, v5
	v_and_b32_e32 v2, 0xffff, v64
	v_lshl_add_u32 v99, v56, 3, 0
	v_mul_u32_u24_e32 v7, 0xaaab, v109
	v_sub_nc_u16 v3, v66, v6
	v_and_b32_e32 v6, 0xffff, v63
	v_and_b32_e32 v20, 0xffff, v5
	v_mul_u32_u24_e32 v2, 0xaaab, v2
	v_lshrrev_b32_e32 v12, 17, v7
	v_and_b32_e32 v18, 0xffff, v3
	v_mul_u32_u24_e32 v5, 0xaaab, v6
	v_lshlrev_b32_e32 v6, 4, v20
	v_lshrrev_b32_e32 v16, 17, v2
	v_mul_lo_u16 v3, v12, 3
	v_lshlrev_b32_e32 v2, 4, v18
	v_lshrrev_b32_e32 v9, 17, v5
	s_clause 0x1
	global_load_b128 v[31:34], v6, s[8:9]
	global_load_b128 v[35:38], v2, s[8:9]
	v_sub_nc_u16 v3, v65, v3
	v_and_b32_e32 v5, 0xffff, v62
	v_mul_lo_u16 v2, v9, 3
	v_and_b32_e32 v6, 0xffff, v61
	v_mul_lo_u16 v7, v16, 3
	v_and_b32_e32 v22, 0xffff, v3
	v_mul_u32_u24_e32 v5, 0xaaab, v5
	v_sub_nc_u16 v2, v63, v2
	v_lshl_add_u32 v96, v67, 3, 0
	v_sub_nc_u16 v3, v64, v7
	v_lshl_add_u32 v95, v66, 3, 0
	v_lshrrev_b32_e32 v14, 17, v5
	v_mul_u32_u24_e32 v5, 0xaaab, v6
	v_lshlrev_b32_e32 v6, 4, v22
	v_and_b32_e32 v21, 0xffff, v3
	v_lshl_add_u32 v92, v65, 3, 0
	v_mul_u32_u24_e32 v13, 0x48, v13
	v_lshrrev_b32_e32 v5, 17, v5
	global_load_b128 v[41:44], v6, s[8:9]
	v_and_b32_e32 v17, 0xffff, v2
	v_mul_lo_u16 v2, v14, 3
	v_lshlrev_b32_e32 v3, 4, v21
	v_mul_u32_u24_e32 v12, 0x48, v12
	v_mul_u32_u24_e32 v9, 0x48, v9
	v_lshlrev_b32_e32 v7, 4, v17
	v_sub_nc_u16 v2, v62, v2
	global_load_b128 v[45:48], v3, s[8:9]
	v_mul_u32_u24_e32 v14, 0x48, v14
	v_and_b32_e32 v0, 0xffff, v0
	global_load_b128 v[68:71], v7, s[8:9]
	v_mul_lo_u16 v6, v5, 3
	v_and_b32_e32 v19, 0xffff, v2
	v_and_b32_e32 v10, 0xffff, v10
	v_mul_u32_u24_e32 v5, 0x48, v5
	v_mul_u32_u24_e32 v0, 0x48, v0
	v_sub_nc_u16 v2, v61, v6
	v_lshlrev_b32_e32 v6, 4, v19
	v_mul_u32_u24_e32 v10, 0x48, v10
	s_delay_alu instid0(VALU_DEP_3) | instskip(SKIP_4) | instid1(VALU_DEP_1)
	v_and_b32_e32 v7, 0xffff, v2
	global_load_b128 v[72:75], v6, s[8:9]
	v_lshlrev_b32_e32 v2, 4, v7
	global_load_b128 v[76:79], v2, s[8:9]
	v_and_b32_e32 v3, 0xffff, v60
	v_mul_u32_u24_e32 v3, 0xaaab, v3
	s_delay_alu instid0(VALU_DEP_1) | instskip(NEXT) | instid1(VALU_DEP_1)
	v_lshrrev_b32_e32 v8, 17, v3
	v_mul_lo_u16 v3, v8, 3
	v_mul_u32_u24_e32 v8, 0x48, v8
	s_delay_alu instid0(VALU_DEP_2) | instskip(NEXT) | instid1(VALU_DEP_1)
	v_sub_nc_u16 v2, v60, v3
	v_and_b32_e32 v6, 0xffff, v2
	s_delay_alu instid0(VALU_DEP_1)
	v_lshlrev_b32_e32 v2, 4, v6
	global_load_b128 v[103:106], v2, s[8:9]
	ds_load_2addr_b64 v[113:116], v97 offset0:56 offset1:164
	ds_load_2addr_b64 v[117:120], v90 offset0:112 offset1:220
	;; [unrolled: 1-line block ×7, first 2 shown]
	s_wait_loadcnt_dscnt 0x906
	v_mul_f32_e32 v2, v24, v114
	s_wait_dscnt 0x5
	v_dual_mul_f32 v3, v24, v113 :: v_dual_mul_f32 v24, v118, v26
	s_wait_loadcnt 0x8
	v_dual_mul_f32 v39, v117, v26 :: v_dual_mul_f32 v26, v116, v28
	v_dual_mul_f32 v49, v115, v28 :: v_dual_mul_f32 v28, v120, v30
	v_fma_f32 v2, v23, v113, -v2
	v_fmac_f32_e32 v3, v23, v114
	v_mul_f32_e32 v51, v119, v30
	v_fma_f32 v80, v115, v27, -v26
	v_fmac_f32_e32 v49, v116, v27
	ds_load_2addr_b64 v[113:116], v88 offset0:120 offset1:228
	v_fma_f32 v81, v119, v29, -v28
	v_fmac_f32_e32 v51, v120, v29
	ds_load_2addr_b64 v[26:29], v101 offset0:24 offset1:132
	v_fma_f32 v50, v117, v25, -v24
	v_fmac_f32_e32 v39, v118, v25
	v_lshlrev_b32_e32 v1, 3, v1
	v_mul_lo_u16 v4, v4, 57
	v_lshlrev_b32_e32 v20, 3, v20
	s_wait_loadcnt_dscnt 0x706
	v_mul_f32_e32 v23, v122, v32
	s_wait_dscnt 0x5
	v_dual_mul_f32 v117, v121, v32 :: v_dual_mul_f32 v24, v126, v34
	s_wait_loadcnt 0x6
	v_dual_mul_f32 v118, v125, v34 :: v_dual_mul_f32 v25, v124, v36
	v_fma_f32 v120, v121, v31, -v23
	v_mul_f32_e32 v23, v128, v38
	v_mul_f32_e32 v119, v123, v36
	v_fmac_f32_e32 v117, v122, v31
	v_fma_f32 v121, v125, v33, -v24
	v_fmac_f32_e32 v118, v126, v33
	ds_load_2addr_b64 v[30:33], v100 offset0:80 offset1:188
	v_fma_f32 v122, v123, v35, -v25
	v_lshlrev_b32_e32 v15, 3, v15
	v_add3_u32 v13, 0, v13, v20
	v_lshlrev_b32_e32 v18, 3, v18
	v_lshlrev_b32_e32 v6, 3, v6
	s_delay_alu instid0(VALU_DEP_4)
	v_add3_u32 v15, 0, v10, v15
	v_add_f32_e32 v10, v120, v121
	s_wait_loadcnt_dscnt 0x505
	v_mul_f32_e32 v24, v130, v42
	s_wait_dscnt 0x4
	v_dual_mul_f32 v126, v133, v44 :: v_dual_mul_f32 v123, v127, v38
	v_dual_fmac_f32 v119, v124, v35 :: v_dual_mul_f32 v124, v129, v42
	v_mul_f32_e32 v25, v134, v44
	v_fma_f32 v129, v129, v41, -v24
	s_delay_alu instid0(VALU_DEP_4)
	v_dual_fmac_f32 v126, v134, v43 :: v_dual_fmac_f32 v123, v128, v37
	s_wait_loadcnt 0x4
	v_mul_f32_e32 v128, v135, v48
	v_mul_f32_e32 v34, v136, v48
	s_wait_loadcnt_dscnt 0x302
	v_mul_f32_e32 v36, v114, v71
	v_fma_f32 v125, v127, v37, -v23
	v_mul_f32_e32 v23, v132, v46
	v_dual_mul_f32 v127, v131, v46 :: v_dual_fmac_f32 v128, v136, v47
	v_mul_f32_e32 v71, v113, v71
	v_fma_f32 v113, v113, v70, -v36
	v_mul_f32_e32 v141, v137, v69
	v_mul_f32_e32 v35, v138, v69
	v_fmac_f32_e32 v124, v130, v41
	v_fmac_f32_e32 v71, v114, v70
	s_wait_loadcnt 0x2
	v_dual_sub_f32 v69, v2, v50 :: v_dual_mul_f32 v24, v140, v73
	v_mul_f32_e32 v73, v139, v73
	v_fma_f32 v130, v133, v43, -v25
	v_lshlrev_b32_e32 v17, 3, v17
	v_lshlrev_b32_e32 v7, 3, v7
	v_fma_f32 v70, v139, v72, -v24
	v_add3_u32 v6, 0, v8, v6
	s_delay_alu instid0(VALU_DEP_4)
	v_add3_u32 v9, 0, v9, v17
	s_wait_loadcnt_dscnt 0x101
	v_mul_f32_e32 v38, v27, v77
	v_fma_f32 v131, v131, v45, -v23
	v_mul_f32_e32 v23, v26, v77
	v_fma_f32 v77, v135, v47, -v34
	v_mul_u32_u24_e32 v17, 0xe38f, v111
	v_fma_f32 v24, v26, v76, -v38
	v_add3_u32 v5, 0, v5, v7
	v_fmac_f32_e32 v23, v27, v76
	ds_load_b64 v[26:27], v82
	s_wait_dscnt 0x0
	v_dual_mul_f32 v41, v31, v79 :: v_dual_add_f32 v36, v26, v2
	s_wait_loadcnt 0x0
	v_dual_mul_f32 v25, v30, v79 :: v_dual_mul_f32 v34, v33, v106
	v_mul_f32_e32 v114, v32, v106
	v_mul_f32_e32 v37, v116, v75
	;; [unrolled: 1-line block ×3, first 2 shown]
	v_fmac_f32_e32 v73, v140, v72
	v_mul_f32_e32 v76, v28, v104
	v_fmac_f32_e32 v114, v33, v105
	v_fma_f32 v72, v115, v74, -v37
	v_fma_f32 v115, v32, v105, -v34
	v_add_f32_e32 v34, v2, v50
	v_fma_f32 v79, v137, v68, -v35
	v_dual_fmac_f32 v127, v132, v45 :: v_dual_fmac_f32 v76, v29, v103
	v_add_f32_e32 v35, v3, v39
	s_delay_alu instid0(VALU_DEP_4)
	v_fma_f32 v26, -0.5, v34, v26
	v_dual_fmac_f32 v141, v138, v68 :: v_dual_sub_f32 v68, v3, v39
	v_fmac_f32_e32 v75, v116, v74
	v_fma_f32 v74, v30, v78, -v41
	v_mul_f32_e32 v30, v29, v104
	v_add_f32_e32 v34, v36, v50
	v_dual_fmac_f32 v25, v31, v78 :: v_dual_add_f32 v50, v80, v81
	v_add_f32_e32 v37, v27, v3
	s_delay_alu instid0(VALU_DEP_4)
	v_fma_f32 v78, v28, v103, -v30
	ds_load_b64 v[28:29], v99
	ds_load_b64 v[30:31], v96
	ds_load_b64 v[32:33], v95
	v_fmamk_f32 v36, v68, 0x3f5db3d7, v26
	v_fmac_f32_e32 v26, 0xbf5db3d7, v68
	v_sub_f32_e32 v132, v49, v51
	v_lshlrev_b32_e32 v106, 4, v64
	v_lshlrev_b32_e32 v107, 4, v63
	;; [unrolled: 1-line block ×4, first 2 shown]
	s_delay_alu instid0(VALU_DEP_4) | instskip(NEXT) | instid1(VALU_DEP_4)
	v_sub_nc_u32_e32 v108, v87, v106
	v_sub_nc_u32_e32 v41, v86, v107
	s_delay_alu instid0(VALU_DEP_3)
	v_sub_nc_u32_e32 v42, v83, v105
	s_wait_dscnt 0x2
	v_add_f32_e32 v68, v28, v80
	v_fma_f32 v28, -0.5, v50, v28
	v_fmac_f32_e32 v27, -0.5, v35
	v_add_f32_e32 v50, v49, v51
	v_dual_sub_f32 v80, v80, v81 :: v_dual_add_f32 v35, v37, v39
	v_add3_u32 v116, 0, v0, v1
	s_delay_alu instid0(VALU_DEP_4)
	v_fmamk_f32 v37, v69, 0xbf5db3d7, v27
	v_fmac_f32_e32 v27, 0x3f5db3d7, v69
	v_add_f32_e32 v69, v29, v49
	v_lshlrev_b32_e32 v103, 4, v62
	v_fmac_f32_e32 v29, -0.5, v50
	v_sub_nc_u32_e32 v1, v84, v104
	s_delay_alu instid0(VALU_DEP_4) | instskip(NEXT) | instid1(VALU_DEP_4)
	v_dual_add_f32 v49, v68, v81 :: v_dual_add_f32 v50, v69, v51
	v_sub_nc_u32_e32 v0, v85, v103
	ds_load_b64 v[38:39], v92
	ds_load_b64 v[43:44], v108
	;; [unrolled: 1-line block ×6, first 2 shown]
	global_wb scope:SCOPE_SE
	s_wait_dscnt 0x0
	s_barrier_signal -1
	s_barrier_wait -1
	v_fmamk_f32 v68, v132, 0x3f5db3d7, v28
	global_inv scope:SCOPE_SE
	v_fmac_f32_e32 v28, 0xbf5db3d7, v132
	ds_store_2addr_b64 v116, v[34:35], v[36:37] offset1:3
	ds_store_b64 v116, v[26:27] offset:48
	v_sub_f32_e32 v36, v117, v118
	v_add_f32_e32 v26, v30, v120
	v_fma_f32 v30, -0.5, v10, v30
	v_dual_add_f32 v10, v31, v117 :: v_dual_add_f32 v27, v117, v118
	v_sub_f32_e32 v37, v120, v121
	v_add_f32_e32 v20, v32, v122
	s_delay_alu instid0(VALU_DEP_4)
	v_fmamk_f32 v34, v36, 0x3f5db3d7, v30
	v_fmac_f32_e32 v30, 0xbf5db3d7, v36
	v_add_f32_e32 v36, v33, v119
	v_fmac_f32_e32 v31, -0.5, v27
	v_add_f32_e32 v27, v10, v118
	v_dual_add_f32 v10, v122, v125 :: v_dual_fmamk_f32 v69, v80, 0xbf5db3d7, v29
	v_fmac_f32_e32 v29, 0x3f5db3d7, v80
	s_delay_alu instid0(VALU_DEP_4) | instskip(NEXT) | instid1(VALU_DEP_3)
	v_dual_fmamk_f32 v35, v37, 0xbf5db3d7, v31 :: v_dual_add_f32 v26, v26, v121
	v_fma_f32 v32, -0.5, v10, v32
	v_add_f32_e32 v10, v119, v123
	ds_store_2addr_b64 v15, v[49:50], v[68:69] offset1:3
	v_dual_sub_f32 v50, v122, v125 :: v_dual_sub_f32 v49, v119, v123
	v_fmac_f32_e32 v31, 0x3f5db3d7, v37
	v_mul_u32_u24_e32 v37, 0x48, v11
	v_dual_fmac_f32 v33, -0.5, v10 :: v_dual_add_f32 v10, v20, v125
	s_delay_alu instid0(VALU_DEP_4) | instskip(NEXT) | instid1(VALU_DEP_3)
	v_dual_add_f32 v11, v36, v123 :: v_dual_fmamk_f32 v36, v49, 0x3f5db3d7, v32
	v_add3_u32 v18, 0, v37, v18
	s_delay_alu instid0(VALU_DEP_3)
	v_dual_fmamk_f32 v37, v50, 0xbf5db3d7, v33 :: v_dual_sub_f32 v20, v124, v126
	ds_store_b64 v15, v[28:29] offset:48
	ds_store_2addr_b64 v13, v[26:27], v[34:35] offset1:3
	ds_store_b64 v13, v[30:31] offset:48
	v_add_f32_e32 v13, v129, v130
	v_lshlrev_b32_e32 v15, 3, v22
	ds_store_2addr_b64 v18, v[10:11], v[36:37] offset1:3
	v_add_f32_e32 v10, v38, v129
	v_fmac_f32_e32 v32, 0xbf5db3d7, v49
	v_fma_f32 v38, -0.5, v13, v38
	v_fmac_f32_e32 v33, 0x3f5db3d7, v50
	v_dual_add_f32 v11, v39, v124 :: v_dual_sub_f32 v22, v129, v130
	v_add_f32_e32 v13, v124, v126
	v_add3_u32 v26, 0, v12, v15
	v_fmamk_f32 v12, v20, 0x3f5db3d7, v38
	v_fmac_f32_e32 v38, 0xbf5db3d7, v20
	v_add_f32_e32 v20, v127, v128
	v_add_f32_e32 v11, v11, v126
	v_dual_fmac_f32 v39, -0.5, v13 :: v_dual_sub_f32 v28, v127, v128
	v_add_f32_e32 v15, v131, v77
	v_lshlrev_b32_e32 v21, 3, v21
	v_sub_f32_e32 v29, v131, v77
	v_dual_add_f32 v27, v44, v127 :: v_dual_fmac_f32 v44, -0.5, v20
	v_mul_u32_u24_e32 v20, 0x48, v16
	v_add_f32_e32 v10, v10, v130
	v_sub_f32_e32 v31, v76, v114
	v_lshrrev_b16 v125, 9, v4
	s_delay_alu instid0(VALU_DEP_4)
	v_add3_u32 v30, 0, v20, v21
	v_fmamk_f32 v21, v29, 0xbf5db3d7, v44
	v_fmac_f32_e32 v44, 0x3f5db3d7, v29
	v_dual_fmamk_f32 v13, v22, 0xbf5db3d7, v39 :: v_dual_add_f32 v16, v27, v128
	v_dual_fmac_f32 v39, 0x3f5db3d7, v22 :: v_dual_add_f32 v22, v43, v131
	v_fma_f32 v43, -0.5, v15, v43
	ds_store_b64 v18, v[32:33] offset:48
	ds_store_2addr_b64 v26, v[10:11], v[12:13] offset1:3
	ds_store_b64 v26, v[38:39] offset:48
	v_add_f32_e32 v10, v79, v113
	v_dual_add_f32 v12, v47, v79 :: v_dual_add_f32 v15, v22, v77
	v_dual_fmamk_f32 v20, v28, 0x3f5db3d7, v43 :: v_dual_sub_f32 v13, v141, v71
	s_delay_alu instid0(VALU_DEP_3) | instskip(NEXT) | instid1(VALU_DEP_3)
	v_fma_f32 v47, -0.5, v10, v47
	v_add_f32_e32 v10, v12, v113
	v_sub_f32_e32 v18, v79, v113
	ds_store_2addr_b64 v30, v[15:16], v[20:21] offset1:3
	v_dual_add_f32 v16, v46, v73 :: v_dual_add_f32 v15, v141, v71
	v_fmac_f32_e32 v43, 0xbf5db3d7, v28
	v_fmamk_f32 v12, v13, 0x3f5db3d7, v47
	s_delay_alu instid0(VALU_DEP_3) | instskip(SKIP_3) | instid1(VALU_DEP_3)
	v_dual_fmac_f32 v47, 0xbf5db3d7, v13 :: v_dual_add_f32 v16, v16, v75
	v_dual_add_f32 v20, v73, v75 :: v_dual_add_f32 v11, v48, v141
	v_dual_fmac_f32 v48, -0.5, v15 :: v_dual_add_f32 v13, v70, v72
	v_dual_add_f32 v15, v45, v70 :: v_dual_add_f32 v26, v2, v24
	v_dual_sub_f32 v21, v73, v75 :: v_dual_fmac_f32 v46, -0.5, v20
	s_delay_alu instid0(VALU_DEP_4) | instskip(NEXT) | instid1(VALU_DEP_4)
	v_dual_add_f32 v11, v11, v71 :: v_dual_sub_f32 v22, v70, v72
	v_fma_f32 v45, -0.5, v13, v45
	v_fmamk_f32 v13, v18, 0xbf5db3d7, v48
	v_fmac_f32_e32 v48, 0x3f5db3d7, v18
	v_dual_add_f32 v18, v24, v74 :: v_dual_add_f32 v15, v15, v72
	s_delay_alu instid0(VALU_DEP_4) | instskip(SKIP_4) | instid1(VALU_DEP_3)
	v_fmamk_f32 v20, v21, 0x3f5db3d7, v45
	v_fmac_f32_e32 v45, 0xbf5db3d7, v21
	v_dual_fmamk_f32 v21, v22, 0xbf5db3d7, v46 :: v_dual_add_f32 v28, v23, v25
	v_dual_add_f32 v27, v3, v23 :: v_dual_fmac_f32 v46, 0x3f5db3d7, v22
	v_fma_f32 v2, -0.5, v18, v2
	v_dual_sub_f32 v18, v23, v25 :: v_dual_fmac_f32 v3, -0.5, v28
	s_delay_alu instid0(VALU_DEP_3) | instskip(SKIP_1) | instid1(VALU_DEP_3)
	v_dual_add_f32 v23, v27, v25 :: v_dual_add_f32 v28, v1, v76
	v_add_f32_e32 v29, v76, v114
	v_fmamk_f32 v25, v18, 0x3f5db3d7, v2
	v_fmac_f32_e32 v2, 0xbf5db3d7, v18
	v_add_f32_e32 v18, v78, v115
	v_add_f32_e32 v22, v26, v74
	;; [unrolled: 1-line block ×3, first 2 shown]
	v_sub_f32_e32 v24, v24, v74
	v_dual_add_f32 v28, v28, v114 :: v_dual_fmac_f32 v1, -0.5, v29
	v_fma_f32 v0, -0.5, v18, v0
	v_sub_f32_e32 v29, v78, v115
	s_delay_alu instid0(VALU_DEP_4) | instskip(SKIP_1) | instid1(VALU_DEP_4)
	v_dual_add_f32 v27, v26, v115 :: v_dual_fmamk_f32 v26, v24, 0xbf5db3d7, v3
	v_dual_fmac_f32 v3, 0x3f5db3d7, v24 :: v_dual_lshlrev_b32 v24, 3, v19
	v_fmamk_f32 v18, v31, 0x3f5db3d7, v0
	s_delay_alu instid0(VALU_DEP_4)
	v_dual_fmac_f32 v0, 0xbf5db3d7, v31 :: v_dual_fmamk_f32 v19, v29, 0xbf5db3d7, v1
	v_fmac_f32_e32 v1, 0x3f5db3d7, v29
	v_mul_lo_u16 v29, v112, 57
	v_lshrrev_b32_e32 v113, 19, v17
	v_add3_u32 v14, 0, v14, v24
	ds_store_b64 v30, v[43:44] offset:48
	ds_store_2addr_b64 v9, v[10:11], v[12:13] offset1:3
	ds_store_b64 v9, v[47:48] offset:48
	ds_store_2addr_b64 v14, v[15:16], v[20:21] offset1:3
	v_lshrrev_b16 v117, 9, v29
	v_mul_lo_u16 v10, v113, 9
	ds_store_b64 v14, v[45:46] offset:48
	ds_store_b64 v5, v[2:3] offset:48
	ds_store_2addr_b64 v5, v[22:23], v[25:26] offset1:3
	v_mul_lo_u16 v9, v117, 9
	v_sub_nc_u16 v7, v67, v10
	ds_store_b64 v6, v[0:1] offset:48
	ds_store_2addr_b64 v6, v[27:28], v[18:19] offset1:3
	global_wb scope:SCOPE_SE
	s_wait_dscnt 0x0
	v_sub_nc_u16 v9, v56, v9
	v_and_b32_e32 v114, 0xffff, v7
	s_barrier_signal -1
	s_barrier_wait -1
	global_inv scope:SCOPE_SE
	v_and_b32_e32 v118, 0xff, v9
	v_mul_u32_u24_e32 v0, 9, v114
	v_mul_lo_u16 v1, v125, 9
	s_delay_alu instid0(VALU_DEP_3) | instskip(NEXT) | instid1(VALU_DEP_3)
	v_mul_u32_u24_e32 v2, 9, v118
	v_lshlrev_b32_e32 v44, 3, v0
	s_delay_alu instid0(VALU_DEP_3) | instskip(NEXT) | instid1(VALU_DEP_3)
	v_sub_nc_u16 v0, v52, v1
	v_lshlrev_b32_e32 v43, 3, v2
	s_clause 0x1
	global_load_b128 v[48:51], v43, s[8:9] offset:48
	global_load_b128 v[127:130], v44, s[8:9] offset:48
	v_and_b32_e32 v126, 0xff, v0
	s_delay_alu instid0(VALU_DEP_1) | instskip(NEXT) | instid1(VALU_DEP_1)
	v_mul_u32_u24_e32 v0, 9, v126
	v_lshlrev_b32_e32 v45, 3, v0
	s_clause 0xc
	global_load_b128 v[4:7], v45, s[8:9] offset:48
	global_load_b128 v[0:3], v45, s[8:9] offset:64
	;; [unrolled: 1-line block ×10, first 2 shown]
	global_load_b64 v[70:71], v45, s[8:9] offset:112
	global_load_b64 v[72:73], v43, s[8:9] offset:112
	;; [unrolled: 1-line block ×3, first 2 shown]
	v_add_nc_u32_e32 v43, 0x1400, v82
	ds_load_2addr_b64 v[131:134], v40 offset0:48 offset1:156
	ds_load_2addr_b64 v[135:138], v43 offset0:116 offset1:224
	ds_load_b64 v[78:79], v41
	ds_load_2addr_b32 v[76:77], v42 offset1:1
	ds_load_2addr_b64 v[44:47], v94 offset0:16 offset1:124
	ds_load_b64 v[80:81], v95
	s_wait_loadcnt_dscnt 0xe05
	v_mul_f32_e32 v40, v132, v49
	v_mul_f32_e32 v121, v131, v49
	s_wait_dscnt 0x4
	v_mul_f32_e32 v41, v136, v51
	s_wait_loadcnt 0xd
	v_dual_mul_f32 v123, v135, v51 :: v_dual_mul_f32 v42, v134, v128
	v_fma_f32 v122, v131, v48, -v40
	v_fmac_f32_e32 v121, v132, v48
	v_fma_f32 v124, v135, v50, -v41
	s_delay_alu instid0(VALU_DEP_4)
	v_fmac_f32_e32 v123, v136, v50
	ds_load_2addr_b64 v[48:51], v97 offset0:56 offset1:164
	v_fma_f32 v120, v133, v127, -v42
	ds_load_2addr_b64 v[40:43], v93 offset0:104 offset1:212
	v_mul_f32_e32 v74, v138, v130
	v_mul_f32_e32 v115, v137, v130
	s_wait_loadcnt_dscnt 0xb04
	v_mul_f32_e32 v130, v77, v1
	v_mul_f32_e32 v131, v1, v76
	s_wait_dscnt 0x3
	v_mul_f32_e32 v1, v45, v3
	v_mul_f32_e32 v119, v133, v128
	s_wait_dscnt 0x2
	v_mul_f32_e32 v128, v5, v80
	v_fma_f32 v130, v0, v76, -v130
	s_wait_loadcnt 0xa
	v_dual_fmac_f32 v131, v77, v0 :: v_dual_mul_f32 v0, v47, v11
	v_fma_f32 v132, v44, v2, -v1
	v_fma_f32 v116, v137, v129, -v74
	v_dual_fmac_f32 v128, v4, v81 :: v_dual_fmac_f32 v119, v134, v127
	v_mul_f32_e32 v127, v5, v81
	v_fma_f32 v135, v46, v10, -v0
	v_mul_f32_e32 v133, v46, v11
	s_wait_dscnt 0x1
	v_mul_f32_e32 v1, v49, v9
	v_mul_f32_e32 v134, v48, v9
	v_fmac_f32_e32 v115, v138, v129
	s_wait_loadcnt_dscnt 0x900
	v_dual_mul_f32 v129, v7, v78 :: v_dual_mul_f32 v0, v40, v19
	v_mul_f32_e32 v5, v7, v79
	v_fma_f32 v48, v48, v8, -v1
	v_mul_f32_e32 v1, v41, v19
	v_fma_f32 v80, v4, v80, -v127
	v_fmac_f32_e32 v0, v41, v18
	v_fma_f32 v81, v6, v78, -v5
	v_fmac_f32_e32 v133, v47, v10
	v_fma_f32 v1, v40, v18, -v1
	s_wait_loadcnt 0x8
	v_mul_f32_e32 v40, v42, v13
	v_fmac_f32_e32 v129, v6, v79
	ds_load_2addr_b64 v[4:7], v101 offset0:24 offset1:132
	ds_load_2addr_b64 v[76:79], v91 offset0:64 offset1:172
	v_dual_mul_f32 v127, v44, v3 :: v_dual_fmac_f32 v134, v49, v8
	ds_load_2addr_b64 v[8:11], v90 offset0:112 offset1:220
	v_fmac_f32_e32 v40, v43, v12
	ds_load_b64 v[74:75], v96
	v_dual_fmac_f32 v127, v45, v2 :: v_dual_mul_f32 v2, v51, v17
	ds_load_2addr_b64 v[44:47], v57 offset0:32 offset1:140
	v_mul_f32_e32 v3, v50, v17
	v_fma_f32 v2, v50, v16, -v2
	s_delay_alu instid0(VALU_DEP_2)
	v_fmac_f32_e32 v3, v51, v16
	s_wait_dscnt 0x4
	v_dual_mul_f32 v16, v43, v13 :: v_dual_mul_f32 v13, v5, v15
	v_mul_f32_e32 v41, v4, v15
	s_wait_loadcnt 0x7
	v_mul_f32_e32 v15, v7, v23
	s_delay_alu instid0(VALU_DEP_3)
	v_fma_f32 v42, v42, v12, -v16
	s_wait_dscnt 0x3
	v_mul_f32_e32 v16, v77, v21
	s_wait_loadcnt 0x6
	v_mul_f32_e32 v17, v79, v25
	v_mul_f32_e32 v43, v6, v23
	;; [unrolled: 1-line block ×3, first 2 shown]
	v_fma_f32 v51, v6, v22, -v15
	v_fma_f32 v76, v76, v20, -v16
	v_fma_f32 v6, v78, v24, -v17
	ds_load_2addr_b64 v[16:19], v88 offset0:120 offset1:228
	v_fma_f32 v50, v4, v14, -v13
	v_fmac_f32_e32 v41, v5, v14
	ds_load_2addr_b64 v[12:15], v89 offset0:72 offset1:180
	v_fmac_f32_e32 v43, v7, v22
	v_mul_f32_e32 v7, v78, v25
	s_wait_loadcnt_dscnt 0x504
	v_dual_fmac_f32 v49, v77, v20 :: v_dual_mul_f32 v20, v11, v29
	s_delay_alu instid0(VALU_DEP_2) | instskip(SKIP_1) | instid1(VALU_DEP_3)
	v_dual_mul_f32 v4, v8, v27 :: v_dual_fmac_f32 v7, v79, v24
	v_mul_f32_e32 v24, v10, v29
	v_fma_f32 v25, v10, v28, -v20
	s_delay_alu instid0(VALU_DEP_3) | instskip(SKIP_4) | instid1(VALU_DEP_2)
	v_fmac_f32_e32 v4, v9, v26
	ds_load_2addr_b64 v[20:23], v100 offset0:80 offset1:188
	v_dual_fmac_f32 v24, v11, v28 :: v_dual_mul_f32 v5, v9, v27
	s_wait_loadcnt_dscnt 0x202
	v_mul_f32_e32 v28, v18, v71
	v_fma_f32 v5, v8, v26, -v5
	v_mul_f32_e32 v8, v45, v31
	v_mul_f32_e32 v26, v44, v31
	s_wait_dscnt 0x1
	v_mul_f32_e32 v10, v13, v33
	v_fmac_f32_e32 v28, v19, v70
	v_mul_f32_e32 v9, v47, v35
	v_mul_f32_e32 v35, v46, v35
	v_fma_f32 v27, v44, v30, -v8
	v_dual_fmac_f32 v26, v45, v30 :: v_dual_mul_f32 v45, v12, v33
	s_delay_alu instid0(VALU_DEP_4) | instskip(NEXT) | instid1(VALU_DEP_4)
	v_fma_f32 v44, v46, v34, -v9
	v_fmac_f32_e32 v35, v47, v34
	v_fma_f32 v34, v12, v32, -v10
	v_dual_mul_f32 v9, v15, v37 :: v_dual_mul_f32 v12, v17, v39
	v_mul_f32_e32 v8, v16, v39
	v_sub_f32_e32 v39, v40, v24
	v_mul_f32_e32 v11, v14, v37
	s_delay_alu instid0(VALU_DEP_4) | instskip(SKIP_2) | instid1(VALU_DEP_4)
	v_fma_f32 v10, v14, v36, -v9
	v_fma_f32 v9, v16, v38, -v12
	v_mul_f32_e32 v12, v19, v71
	v_dual_fmac_f32 v8, v17, v38 :: v_dual_fmac_f32 v11, v15, v36
	v_dual_sub_f32 v46, v129, v127 :: v_dual_add_f32 v15, v42, v25
	s_delay_alu instid0(VALU_DEP_3) | instskip(SKIP_2) | instid1(VALU_DEP_4)
	v_fma_f32 v29, v18, v70, -v12
	v_dual_sub_f32 v18, v28, v24 :: v_dual_sub_f32 v47, v26, v41
	v_sub_f32_e32 v17, v131, v40
	v_fma_f32 v31, -0.5, v15, v80
	s_wait_loadcnt_dscnt 0x0
	v_mul_f32_e32 v14, v23, v69
	v_mul_f32_e32 v36, v20, v73
	v_add_f32_e32 v46, v46, v47
	v_add_f32_e32 v38, v17, v18
	v_fmac_f32_e32 v45, v13, v32
	v_sub_f32_e32 v32, v131, v28
	v_fma_f32 v12, v22, v68, -v14
	v_add_f32_e32 v14, v40, v24
	v_sub_f32_e32 v16, v130, v42
	v_sub_f32_e32 v78, v127, v41
	v_fmamk_f32 v18, v32, 0x3f737871, v31
	v_fmac_f32_e32 v36, v21, v72
	v_fma_f32 v30, -0.5, v14, v128
	v_sub_f32_e32 v79, v81, v27
	s_delay_alu instid0(VALU_DEP_4) | instskip(NEXT) | instid1(VALU_DEP_1)
	v_dual_fmac_f32 v18, 0x3f167918, v39 :: v_dual_mul_f32 v13, v21, v73
	v_fma_f32 v37, v20, v72, -v13
	v_mul_f32_e32 v13, v22, v69
	v_sub_f32_e32 v20, v29, v25
	v_sub_f32_e32 v22, v130, v29
	s_delay_alu instid0(VALU_DEP_3) | instskip(NEXT) | instid1(VALU_DEP_3)
	v_dual_sub_f32 v72, v129, v26 :: v_dual_fmac_f32 v13, v23, v68
	v_add_f32_e32 v23, v16, v20
	ds_load_b64 v[16:17], v99
	ds_load_b64 v[14:15], v82
	v_dual_fmamk_f32 v19, v22, 0xbf737871, v30 :: v_dual_sub_f32 v20, v27, v50
	v_dual_fmac_f32 v18, 0x3e9e377a, v23 :: v_dual_sub_f32 v33, v42, v25
	v_fmac_f32_e32 v30, 0x3f737871, v22
	global_wb scope:SCOPE_SE
	s_wait_dscnt 0x0
	s_barrier_signal -1
	s_barrier_wait -1
	v_fmac_f32_e32 v19, 0xbf167918, v33
	global_inv scope:SCOPE_SE
	v_fmac_f32_e32 v19, 0x3e9e377a, v38
	s_delay_alu instid0(VALU_DEP_1) | instskip(SKIP_1) | instid1(VALU_DEP_2)
	v_dual_mul_f32 v68, 0x3f167918, v19 :: v_dual_add_f32 v71, v15, v129
	v_sub_f32_e32 v21, v81, v132
	v_dual_add_f32 v69, v14, v81 :: v_dual_fmac_f32 v68, 0x3f4f1bbd, v18
	v_fmac_f32_e32 v30, 0x3f167918, v33
	s_delay_alu instid0(VALU_DEP_3) | instskip(NEXT) | instid1(VALU_DEP_3)
	v_add_f32_e32 v70, v21, v20
	v_dual_add_f32 v21, v69, v132 :: v_dual_and_b32 v20, 0xffff, v125
	v_mul_f32_e32 v69, 0xbf167918, v18
	v_sub_f32_e32 v125, v132, v50
	v_add_f32_e32 v47, v132, v50
	s_delay_alu instid0(VALU_DEP_4) | instskip(SKIP_2) | instid1(VALU_DEP_2)
	v_mul_u32_u24_e32 v18, 0x2d0, v20
	v_lshlrev_b32_e32 v20, 3, v126
	v_fmac_f32_e32 v30, 0x3e9e377a, v38
	v_add3_u32 v73, 0, v18, v20
	v_add_f32_e32 v18, v71, v127
	v_add_f32_e32 v20, v127, v41
	s_delay_alu instid0(VALU_DEP_2) | instskip(SKIP_1) | instid1(VALU_DEP_3)
	v_dual_add_f32 v18, v18, v41 :: v_dual_add_f32 v21, v21, v50
	v_sub_f32_e32 v50, v50, v27
	v_fma_f32 v126, -0.5, v20, v15
	s_delay_alu instid0(VALU_DEP_3) | instskip(SKIP_3) | instid1(VALU_DEP_3)
	v_add_f32_e32 v77, v21, v27
	v_sub_f32_e32 v21, v132, v81
	v_add_f32_e32 v27, v81, v27
	v_add_f32_e32 v81, v128, v131
	v_dual_add_f32 v21, v21, v50 :: v_dual_fmamk_f32 v50, v79, 0xbf737871, v126
	s_delay_alu instid0(VALU_DEP_2) | instskip(NEXT) | instid1(VALU_DEP_2)
	v_dual_add_f32 v20, v81, v40 :: v_dual_sub_f32 v81, v127, v129
	v_fmac_f32_e32 v50, 0xbf167918, v125
	v_fma_f32 v47, -0.5, v47, v14
	v_fma_f32 v14, -0.5, v27, v14
	v_add_f32_e32 v27, v18, v26
	v_add_f32_e32 v18, v129, v26
	v_sub_f32_e32 v26, v41, v26
	v_dual_add_f32 v20, v20, v24 :: v_dual_fmac_f32 v69, 0x3f4f1bbd, v19
	v_fmamk_f32 v41, v78, 0xbf737871, v14
	v_fmac_f32_e32 v14, 0x3f737871, v78
	s_delay_alu instid0(VALU_DEP_4) | instskip(SKIP_2) | instid1(VALU_DEP_4)
	v_dual_add_f32 v26, v81, v26 :: v_dual_add_f32 v81, v130, v29
	v_sub_f32_e32 v24, v24, v28
	v_fmac_f32_e32 v50, 0x3e9e377a, v46
	v_dual_fmac_f32 v14, 0xbf167918, v72 :: v_dual_add_f32 v19, v80, v130
	s_delay_alu instid0(VALU_DEP_4) | instskip(SKIP_1) | instid1(VALU_DEP_3)
	v_dual_fmac_f32 v80, -0.5, v81 :: v_dual_add_f32 v129, v20, v28
	v_add_f32_e32 v20, v131, v28
	v_dual_fmac_f32 v14, 0x3e9e377a, v21 :: v_dual_add_f32 v19, v19, v42
	v_sub_f32_e32 v42, v42, v130
	s_delay_alu instid0(VALU_DEP_3) | instskip(NEXT) | instid1(VALU_DEP_3)
	v_dual_fmac_f32 v128, -0.5, v20 :: v_dual_fmac_f32 v15, -0.5, v18
	v_add_f32_e32 v19, v19, v25
	v_sub_f32_e32 v25, v25, v29
	s_delay_alu instid0(VALU_DEP_3) | instskip(SKIP_1) | instid1(VALU_DEP_4)
	v_fmamk_f32 v28, v33, 0x3f737871, v128
	v_fmac_f32_e32 v128, 0xbf737871, v33
	v_add_f32_e32 v127, v19, v29
	v_fmamk_f32 v71, v72, 0x3f737871, v47
	v_add_f32_e32 v25, v42, v25
	v_dual_sub_f32 v29, v40, v131 :: v_dual_fmamk_f32 v40, v39, 0xbf737871, v80
	s_delay_alu instid0(VALU_DEP_3) | instskip(SKIP_1) | instid1(VALU_DEP_3)
	v_dual_add_f32 v18, v77, v127 :: v_dual_fmac_f32 v71, 0x3f167918, v78
	v_dual_fmac_f32 v80, 0x3f737871, v39 :: v_dual_add_f32 v19, v27, v129
	v_fmac_f32_e32 v40, 0x3f167918, v32
	v_fmac_f32_e32 v28, 0xbf167918, v22
	;; [unrolled: 1-line block ×3, first 2 shown]
	v_fmamk_f32 v81, v125, 0x3f737871, v15
	v_fmac_f32_e32 v80, 0xbf167918, v32
	v_fmac_f32_e32 v40, 0x3e9e377a, v25
	v_dual_add_f32 v24, v29, v24 :: v_dual_fmac_f32 v71, 0x3e9e377a, v70
	v_fmac_f32_e32 v31, 0xbf737871, v32
	s_delay_alu instid0(VALU_DEP_2) | instskip(NEXT) | instid1(VALU_DEP_3)
	v_dual_sub_f32 v27, v27, v129 :: v_dual_fmac_f32 v28, 0x3e9e377a, v24
	v_add_f32_e32 v20, v71, v68
	v_fmac_f32_e32 v128, 0x3e9e377a, v24
	s_delay_alu instid0(VALU_DEP_3) | instskip(NEXT) | instid1(VALU_DEP_1)
	v_mul_f32_e32 v42, 0x3f737871, v28
	v_fmac_f32_e32 v42, 0x3e9e377a, v40
	v_mul_f32_e32 v40, 0xbf737871, v40
	v_fmac_f32_e32 v41, 0x3f167918, v72
	s_delay_alu instid0(VALU_DEP_1) | instskip(SKIP_2) | instid1(VALU_DEP_3)
	v_dual_fmac_f32 v40, 0x3e9e377a, v28 :: v_dual_fmac_f32 v41, 0x3e9e377a, v21
	v_fmac_f32_e32 v15, 0xbf737871, v125
	v_dual_fmac_f32 v47, 0xbf737871, v72 :: v_dual_sub_f32 v72, v135, v51
	v_sub_f32_e32 v32, v41, v42
	s_delay_alu instid0(VALU_DEP_3) | instskip(SKIP_1) | instid1(VALU_DEP_4)
	v_dual_add_f32 v22, v41, v42 :: v_dual_fmac_f32 v15, 0x3f167918, v79
	v_dual_fmac_f32 v80, 0x3e9e377a, v25 :: v_dual_mul_f32 v25, 0x3e9e377a, v128
	v_fmac_f32_e32 v47, 0xbf167918, v78
	s_delay_alu instid0(VALU_DEP_3) | instskip(NEXT) | instid1(VALU_DEP_3)
	v_fmac_f32_e32 v15, 0x3e9e377a, v26
	v_dual_add_f32 v21, v50, v69 :: v_dual_mul_f32 v24, 0x3e9e377a, v80
	s_delay_alu instid0(VALU_DEP_4) | instskip(NEXT) | instid1(VALU_DEP_2)
	v_fma_f32 v80, 0xbf737871, v80, -v25
	v_fma_f32 v128, 0x3f737871, v128, -v24
	v_fmac_f32_e32 v81, 0xbf167918, v79
	v_fmac_f32_e32 v47, 0x3e9e377a, v70
	;; [unrolled: 1-line block ×3, first 2 shown]
	v_sub_f32_e32 v70, v133, v43
	s_delay_alu instid0(VALU_DEP_4) | instskip(SKIP_1) | instid1(VALU_DEP_4)
	v_dual_add_f32 v24, v14, v128 :: v_dual_fmac_f32 v81, 0x3e9e377a, v26
	v_fmac_f32_e32 v126, 0x3f737871, v79
	v_fmac_f32_e32 v31, 0x3e9e377a, v23
	s_delay_alu instid0(VALU_DEP_3) | instskip(NEXT) | instid1(VALU_DEP_3)
	v_dual_mul_f32 v26, 0x3f4f1bbd, v30 :: v_dual_add_f32 v23, v81, v40
	v_dual_fmac_f32 v126, 0x3f167918, v125 :: v_dual_sub_f32 v33, v81, v40
	s_delay_alu instid0(VALU_DEP_1) | instskip(NEXT) | instid1(VALU_DEP_4)
	v_fmac_f32_e32 v126, 0x3e9e377a, v46
	v_mul_f32_e32 v25, 0x3f4f1bbd, v31
	s_delay_alu instid0(VALU_DEP_4) | instskip(SKIP_1) | instid1(VALU_DEP_3)
	v_fma_f32 v39, 0xbf167918, v31, -v26
	v_sub_f32_e32 v26, v77, v127
	v_fma_f32 v38, 0x3f167918, v30, -v25
	v_add_f32_e32 v25, v15, v80
	s_delay_alu instid0(VALU_DEP_4) | instskip(NEXT) | instid1(VALU_DEP_3)
	v_dual_add_f32 v29, v126, v39 :: v_dual_sub_f32 v30, v71, v68
	v_dual_sub_f32 v31, v50, v69 :: v_dual_add_f32 v28, v47, v38
	ds_store_2addr_b64 v73, v[18:19], v[20:21] offset1:9
	ds_store_2addr_b64 v73, v[22:23], v[24:25] offset0:18 offset1:27
	ds_store_2addr_b64 v73, v[28:29], v[26:27] offset0:36 offset1:45
	;; [unrolled: 1-line block ×3, first 2 shown]
	v_sub_f32_e32 v18, v14, v128
	v_sub_f32_e32 v20, v47, v38
	v_dual_add_f32 v14, v49, v45 :: v_dual_sub_f32 v19, v15, v80
	v_sub_f32_e32 v30, v76, v34
	v_dual_sub_f32 v22, v48, v76 :: v_dual_sub_f32 v23, v37, v34
	s_delay_alu instid0(VALU_DEP_3) | instskip(SKIP_4) | instid1(VALU_DEP_4)
	v_fma_f32 v26, -0.5, v14, v121
	v_sub_f32_e32 v27, v48, v37
	v_dual_add_f32 v15, v76, v34 :: v_dual_sub_f32 v14, v134, v49
	v_sub_f32_e32 v38, v35, v43
	v_sub_f32_e32 v68, v124, v44
	v_fmamk_f32 v24, v27, 0xbf737871, v26
	s_delay_alu instid0(VALU_DEP_4) | instskip(SKIP_3) | instid1(VALU_DEP_3)
	v_fma_f32 v28, -0.5, v15, v122
	v_sub_f32_e32 v15, v36, v45
	v_sub_f32_e32 v29, v134, v36
	;; [unrolled: 1-line block ×3, first 2 shown]
	v_dual_fmac_f32 v24, 0xbf167918, v30 :: v_dual_add_f32 v33, v14, v15
	s_delay_alu instid0(VALU_DEP_3)
	v_fmamk_f32 v25, v29, 0x3f737871, v28
	v_sub_f32_e32 v21, v126, v39
	v_sub_f32_e32 v14, v124, v135
	v_add_f32_e32 v32, v22, v23
	v_fmac_f32_e32 v24, 0x3e9e377a, v33
	v_sub_f32_e32 v31, v49, v45
	v_dual_sub_f32 v22, v123, v133 :: v_dual_add_f32 v23, v16, v124
	s_delay_alu instid0(VALU_DEP_3) | instskip(NEXT) | instid1(VALU_DEP_2)
	v_dual_sub_f32 v15, v44, v51 :: v_dual_mul_f32 v40, 0x3f167918, v24
	v_dual_fmac_f32 v25, 0x3f167918, v31 :: v_dual_add_f32 v38, v22, v38
	v_add_f32_e32 v22, v135, v51
	v_fmac_f32_e32 v28, 0xbf737871, v29
	ds_store_2addr_b64 v73, v[18:19], v[20:21] offset0:72 offset1:81
	v_fmac_f32_e32 v25, 0x3e9e377a, v32
	v_fmac_f32_e32 v26, 0x3f737871, v27
	v_fma_f32 v46, -0.5, v22, v16
	v_dual_fmac_f32 v28, 0xbf167918, v31 :: v_dual_sub_f32 v73, v116, v9
	s_delay_alu instid0(VALU_DEP_4) | instskip(NEXT) | instid1(VALU_DEP_4)
	v_mul_f32_e32 v41, 0xbf167918, v25
	v_fmac_f32_e32 v26, 0x3f167918, v30
	s_delay_alu instid0(VALU_DEP_3) | instskip(SKIP_1) | instid1(VALU_DEP_4)
	v_fmac_f32_e32 v28, 0x3e9e377a, v32
	v_add_f32_e32 v32, v0, v4
	v_dual_fmac_f32 v41, 0x3f4f1bbd, v24 :: v_dual_lshlrev_b32 v24, 3, v118
	v_add_f32_e32 v39, v14, v15
	v_add_f32_e32 v14, v23, v135
	v_dual_add_f32 v23, v17, v123 :: v_dual_fmac_f32 v40, 0x3f4f1bbd, v25
	v_dual_fmac_f32 v26, 0x3e9e377a, v33 :: v_dual_add_f32 v33, v115, v8
	s_delay_alu instid0(VALU_DEP_3) | instskip(NEXT) | instid1(VALU_DEP_3)
	v_dual_add_f32 v14, v14, v51 :: v_dual_and_b32 v15, 0xffff, v117
	v_dual_add_f32 v22, v23, v133 :: v_dual_add_f32 v23, v122, v48
	s_delay_alu instid0(VALU_DEP_2) | instskip(SKIP_1) | instid1(VALU_DEP_4)
	v_dual_add_f32 v25, v121, v134 :: v_dual_add_f32 v42, v14, v44
	v_add_f32_e32 v14, v133, v43
	v_mul_u32_u24_e32 v15, 0x2d0, v15
	s_delay_alu instid0(VALU_DEP_4) | instskip(SKIP_1) | instid1(VALU_DEP_4)
	v_dual_add_f32 v22, v22, v43 :: v_dual_add_f32 v117, v48, v37
	v_sub_f32_e32 v51, v51, v44
	v_fma_f32 v50, -0.5, v14, v17
	v_add_f32_e32 v14, v23, v76
	v_sub_f32_e32 v47, v123, v35
	v_dual_add_f32 v23, v25, v49 :: v_dual_add_f32 v44, v124, v44
	v_fmac_f32_e32 v122, -0.5, v117
	s_delay_alu instid0(VALU_DEP_3) | instskip(SKIP_2) | instid1(VALU_DEP_3)
	v_dual_add_f32 v14, v14, v34 :: v_dual_fmamk_f32 v69, v47, 0x3f737871, v46
	v_dual_fmamk_f32 v71, v68, 0xbf737871, v50 :: v_dual_sub_f32 v34, v34, v37
	v_fmac_f32_e32 v50, 0x3f737871, v68
	v_add_f32_e32 v78, v14, v37
	v_add_f32_e32 v23, v23, v45
	v_fmac_f32_e32 v69, 0x3f167918, v70
	v_fmac_f32_e32 v71, 0xbf167918, v72
	v_add3_u32 v14, 0, v15, v24
	v_add_f32_e32 v15, v123, v35
	v_fmamk_f32 v37, v31, 0xbf737871, v122
	v_fmac_f32_e32 v69, 0x3e9e377a, v39
	v_add_f32_e32 v77, v22, v35
	v_dual_add_f32 v22, v42, v78 :: v_dual_add_f32 v79, v23, v36
	v_sub_f32_e32 v35, v43, v35
	v_dual_sub_f32 v43, v76, v48 :: v_dual_sub_f32 v48, v49, v134
	v_dual_fmac_f32 v71, 0x3e9e377a, v38 :: v_dual_add_f32 v24, v69, v40
	s_delay_alu instid0(VALU_DEP_4) | instskip(NEXT) | instid1(VALU_DEP_3)
	v_add_f32_e32 v23, v77, v79
	v_dual_add_f32 v81, v134, v36 :: v_dual_add_f32 v34, v43, v34
	s_delay_alu instid0(VALU_DEP_3) | instskip(SKIP_3) | instid1(VALU_DEP_4)
	v_dual_sub_f32 v36, v45, v36 :: v_dual_add_f32 v25, v71, v41
	v_fmac_f32_e32 v122, 0x3f737871, v31
	v_fma_f32 v43, -0.5, v44, v16
	v_sub_f32_e32 v20, v77, v79
	v_add_f32_e32 v36, v48, v36
	ds_store_2addr_b64 v14, v[22:23], v[24:25] offset1:9
	v_dual_fmac_f32 v122, 0xbf167918, v29 :: v_dual_fmac_f32 v17, -0.5, v15
	v_dual_fmamk_f32 v48, v70, 0xbf737871, v43 :: v_dual_sub_f32 v23, v69, v40
	v_fmac_f32_e32 v43, 0x3f737871, v70
	s_delay_alu instid0(VALU_DEP_3) | instskip(NEXT) | instid1(VALU_DEP_4)
	v_dual_fmac_f32 v122, 0x3e9e377a, v34 :: v_dual_sub_f32 v15, v133, v123
	v_fmamk_f32 v44, v72, 0x3f737871, v17
	v_fmac_f32_e32 v17, 0xbf737871, v72
	v_fmac_f32_e32 v48, 0x3f167918, v47
	s_delay_alu instid0(VALU_DEP_4) | instskip(NEXT) | instid1(VALU_DEP_4)
	v_dual_mul_f32 v16, 0x3e9e377a, v122 :: v_dual_add_f32 v35, v15, v35
	v_fmac_f32_e32 v44, 0xbf167918, v68
	s_delay_alu instid0(VALU_DEP_4) | instskip(SKIP_2) | instid1(VALU_DEP_4)
	v_dual_fmac_f32 v17, 0x3f167918, v68 :: v_dual_sub_f32 v24, v71, v41
	v_add_f32_e32 v49, v80, v51
	v_fmac_f32_e32 v46, 0xbf737871, v47
	v_fmac_f32_e32 v44, 0x3e9e377a, v35
	s_delay_alu instid0(VALU_DEP_4) | instskip(SKIP_4) | instid1(VALU_DEP_4)
	v_fmac_f32_e32 v17, 0x3e9e377a, v35
	v_fmac_f32_e32 v121, -0.5, v81
	v_fmac_f32_e32 v37, 0x3f167918, v29
	v_fmac_f32_e32 v48, 0x3e9e377a, v49
	v_dual_fmac_f32 v43, 0xbf167918, v47 :: v_dual_fmac_f32 v46, 0xbf167918, v70
	v_fmamk_f32 v45, v30, 0x3f737871, v121
	v_fmac_f32_e32 v121, 0xbf737871, v30
	v_fmac_f32_e32 v37, 0x3e9e377a, v34
	s_delay_alu instid0(VALU_DEP_4) | instskip(NEXT) | instid1(VALU_DEP_4)
	v_dual_fmac_f32 v43, 0x3e9e377a, v49 :: v_dual_fmac_f32 v46, 0x3e9e377a, v39
	v_fmac_f32_e32 v45, 0xbf167918, v27
	s_delay_alu instid0(VALU_DEP_4) | instskip(NEXT) | instid1(VALU_DEP_4)
	v_fmac_f32_e32 v121, 0x3f167918, v27
	v_mul_f32_e32 v27, 0xbf737871, v37
	v_mul_f32_e32 v29, 0x3f4f1bbd, v26
	v_fmac_f32_e32 v50, 0x3f167918, v72
	v_mul_f32_e32 v22, 0x3f4f1bbd, v28
	v_dual_fmac_f32 v121, 0x3e9e377a, v36 :: v_dual_add_f32 v34, v6, v10
	s_delay_alu instid0(VALU_DEP_4) | instskip(SKIP_2) | instid1(VALU_DEP_4)
	v_fma_f32 v31, 0xbf167918, v28, -v29
	v_sub_f32_e32 v28, v1, v116
	v_dual_fmac_f32 v45, 0x3e9e377a, v36 :: v_dual_fmac_f32 v50, 0x3e9e377a, v38
	v_mul_f32_e32 v15, 0x3e9e377a, v121
	v_fma_f32 v19, 0x3f737871, v121, -v16
	v_dual_sub_f32 v29, v5, v9 :: v_dual_add_f32 v36, v120, v2
	s_delay_alu instid0(VALU_DEP_4) | instskip(NEXT) | instid1(VALU_DEP_4)
	v_mul_f32_e32 v25, 0x3f737871, v45
	v_fma_f32 v15, 0xbf737871, v122, -v15
	v_fmac_f32_e32 v27, 0x3e9e377a, v45
	v_fma_f32 v40, -0.5, v32, v75
	s_delay_alu instid0(VALU_DEP_4) | instskip(NEXT) | instid1(VALU_DEP_4)
	v_dual_sub_f32 v32, v10, v12 :: v_dual_fmac_f32 v25, 0x3e9e377a, v37
	v_add_f32_e32 v16, v17, v15
	v_sub_f32_e32 v18, v17, v15
	v_add_f32_e32 v15, v43, v19
	v_sub_f32_e32 v17, v43, v19
	v_sub_f32_e32 v19, v42, v78
	v_dual_add_f32 v37, v28, v29 :: v_dual_add_f32 v28, v2, v12
	v_dual_add_f32 v21, v48, v25 :: v_dual_sub_f32 v42, v7, v11
	v_fma_f32 v38, -0.5, v34, v120
	s_delay_alu instid0(VALU_DEP_3)
	v_dual_sub_f32 v29, v6, v2 :: v_dual_fmac_f32 v120, -0.5, v28
	v_fma_f32 v30, 0x3f167918, v26, -v22
	v_add_f32_e32 v22, v44, v27
	v_sub_f32_e32 v26, v44, v27
	v_dual_sub_f32 v44, v6, v10 :: v_dual_add_f32 v35, v75, v115
	v_fmamk_f32 v45, v42, 0xbf737871, v120
	v_dual_fmac_f32 v120, 0x3f737871, v42 :: v_dual_sub_f32 v47, v3, v13
	v_fmac_f32_e32 v75, -0.5, v33
	v_dual_add_f32 v33, v7, v11 :: v_dual_sub_f32 v68, v0, v4
	v_dual_add_f32 v39, v29, v32 :: v_dual_add_f32 v32, v116, v9
	v_dual_add_f32 v27, v46, v30 :: v_dual_add_f32 v28, v3, v13
	v_sub_f32_e32 v25, v48, v25
	s_delay_alu instid0(VALU_DEP_4) | instskip(NEXT) | instid1(VALU_DEP_4)
	v_fma_f32 v41, -0.5, v33, v119
	v_fma_f32 v34, -0.5, v32, v74
	v_add_f32_e32 v43, v119, v3
	v_sub_f32_e32 v69, v1, v5
	v_sub_f32_e32 v71, v115, v8
	s_delay_alu instid0(VALU_DEP_4) | instskip(SKIP_4) | instid1(VALU_DEP_3)
	v_dual_sub_f32 v49, v2, v12 :: v_dual_fmamk_f32 v70, v68, 0xbf737871, v34
	v_fmac_f32_e32 v34, 0x3f737871, v68
	v_dual_fmac_f32 v120, 0xbf167918, v47 :: v_dual_fmac_f32 v119, -0.5, v28
	v_sub_f32_e32 v28, v7, v3
	v_dual_sub_f32 v29, v11, v13 :: v_dual_fmamk_f32 v72, v69, 0x3f737871, v75
	v_fmac_f32_e32 v120, 0x3e9e377a, v39
	s_delay_alu instid0(VALU_DEP_4) | instskip(SKIP_1) | instid1(VALU_DEP_4)
	v_fmamk_f32 v48, v44, 0x3f737871, v119
	v_fmac_f32_e32 v119, 0xbf737871, v44
	v_dual_add_f32 v51, v28, v29 :: v_dual_fmac_f32 v34, 0xbf167918, v71
	v_sub_f32_e32 v33, v0, v115
	v_sub_f32_e32 v28, v4, v8
	v_add_f32_e32 v36, v36, v6
	v_sub_f32_e32 v2, v2, v6
	v_fmac_f32_e32 v34, 0x3e9e377a, v37
	v_sub_f32_e32 v6, v12, v10
	v_add_f32_e32 v76, v33, v28
	v_dual_add_f32 v28, v50, v31 :: v_dual_fmac_f32 v119, 0x3f167918, v49
	v_add_f32_e32 v36, v36, v10
	s_delay_alu instid0(VALU_DEP_4) | instskip(SKIP_1) | instid1(VALU_DEP_4)
	v_add_f32_e32 v6, v2, v6
	v_dual_sub_f32 v2, v9, v5 :: v_dual_fmac_f32 v45, 0x3f167918, v47
	v_fmac_f32_e32 v119, 0x3e9e377a, v51
	v_fmac_f32_e32 v72, 0xbf167918, v73
	ds_store_2addr_b64 v14, v[21:22], v[15:16] offset0:18 offset1:27
	ds_store_2addr_b64 v14, v[27:28], v[19:20] offset0:36 offset1:45
	;; [unrolled: 1-line block ×3, first 2 shown]
	v_mul_f32_e32 v32, 0x3e9e377a, v119
	v_fmac_f32_e32 v48, 0xbf167918, v49
	v_fmac_f32_e32 v72, 0x3e9e377a, v76
	s_delay_alu instid0(VALU_DEP_3) | instskip(NEXT) | instid1(VALU_DEP_3)
	v_fma_f32 v77, 0xbf737871, v120, -v32
	v_dual_mul_f32 v29, 0x3e9e377a, v120 :: v_dual_fmac_f32 v48, 0x3e9e377a, v51
	s_delay_alu instid0(VALU_DEP_1)
	v_fma_f32 v33, 0x3f737871, v119, -v29
	v_sub_f32_e32 v29, v46, v30
	v_dual_add_f32 v46, v74, v116 :: v_dual_fmac_f32 v75, 0xbf737871, v69
	v_sub_f32_e32 v30, v50, v31
	v_add_f32_e32 v50, v1, v5
	v_add_f32_e32 v31, v34, v33
	s_delay_alu instid0(VALU_DEP_4) | instskip(SKIP_4) | instid1(VALU_DEP_4)
	v_add_f32_e32 v46, v46, v1
	v_fmac_f32_e32 v75, 0x3f167918, v73
	v_add_f32_e32 v35, v35, v0
	v_fma_f32 v50, -0.5, v50, v74
	v_add_f32_e32 v74, v36, v12
	v_dual_add_f32 v46, v46, v5 :: v_dual_fmac_f32 v75, 0x3e9e377a, v76
	v_add_f32_e32 v43, v43, v7
	v_add_f32_e32 v35, v35, v4
	v_sub_f32_e32 v1, v116, v1
	s_delay_alu instid0(VALU_DEP_4)
	v_add_f32_e32 v46, v46, v9
	v_add_f32_e32 v32, v75, v77
	v_dual_add_f32 v43, v43, v11 :: v_dual_sub_f32 v4, v8, v4
	v_sub_f32_e32 v0, v115, v0
	v_add_f32_e32 v10, v1, v2
	ds_store_2addr_b64 v14, v[17:18], v[29:30] offset0:72 offset1:81
	v_add_f32_e32 v43, v43, v13
	v_sub_f32_e32 v33, v34, v33
	v_sub_f32_e32 v34, v75, v77
	v_add_f32_e32 v75, v35, v8
	v_dual_add_f32 v35, v46, v74 :: v_dual_fmamk_f32 v8, v71, 0x3f737871, v50
	v_sub_f32_e32 v3, v3, v7
	v_sub_f32_e32 v7, v13, v11
	v_fmamk_f32 v11, v49, 0xbf737871, v41
	v_fmac_f32_e32 v41, 0x3f737871, v49
	v_fmac_f32_e32 v8, 0x3f167918, v68
	v_add_f32_e32 v13, v0, v4
	v_dual_add_f32 v7, v3, v7 :: v_dual_sub_f32 v0, v46, v74
	s_delay_alu instid0(VALU_DEP_4) | instskip(NEXT) | instid1(VALU_DEP_4)
	v_dual_fmac_f32 v70, 0x3f167918, v71 :: v_dual_fmac_f32 v41, 0x3f167918, v44
	v_fmac_f32_e32 v8, 0x3e9e377a, v10
	v_fmamk_f32 v3, v47, 0x3f737871, v38
	v_fmac_f32_e32 v38, 0xbf737871, v47
	s_delay_alu instid0(VALU_DEP_4)
	v_fmac_f32_e32 v70, 0x3e9e377a, v37
	v_fmamk_f32 v9, v73, 0xbf737871, v40
	v_fmac_f32_e32 v40, 0x3f737871, v73
	v_fmac_f32_e32 v3, 0x3f167918, v42
	;; [unrolled: 1-line block ×8, first 2 shown]
	v_dual_fmac_f32 v38, 0x3e9e377a, v6 :: v_dual_fmac_f32 v41, 0x3e9e377a, v7
	v_sub_f32_e32 v1, v75, v43
	s_delay_alu instid0(VALU_DEP_4) | instskip(NEXT) | instid1(VALU_DEP_4)
	v_mul_f32_e32 v12, 0xbf167918, v3
	v_fmac_f32_e32 v11, 0x3e9e377a, v7
	v_fmac_f32_e32 v50, 0xbf167918, v68
	v_mul_f32_e32 v7, 0x3f4f1bbd, v38
	v_fmac_f32_e32 v40, 0x3e9e377a, v13
	v_add_f32_e32 v36, v75, v43
	v_mul_f32_e32 v5, 0x3f167918, v11
	v_dual_fmac_f32 v12, 0x3f4f1bbd, v11 :: v_dual_mul_f32 v11, 0x3f4f1bbd, v41
	v_fmac_f32_e32 v50, 0x3e9e377a, v10
	v_fma_f32 v10, 0x3f167918, v41, -v7
	s_delay_alu instid0(VALU_DEP_4) | instskip(NEXT) | instid1(VALU_DEP_4)
	v_fmac_f32_e32 v5, 0x3f4f1bbd, v3
	v_fma_f32 v11, 0xbf167918, v38, -v11
	s_delay_alu instid0(VALU_DEP_2)
	v_dual_add_f32 v37, v50, v10 :: v_dual_add_f32 v2, v8, v5
	v_sub_f32_e32 v4, v8, v5
	v_dual_mul_f32 v8, 0x3f737871, v48 :: v_dual_sub_f32 v39, v50, v10
	v_add_nc_u32_e32 v10, 0xffffffa6, v52
	v_add_f32_e32 v38, v40, v11
	v_sub_f32_e32 v40, v40, v11
	s_delay_alu instid0(VALU_DEP_4) | instskip(SKIP_3) | instid1(VALU_DEP_3)
	v_fmac_f32_e32 v8, 0x3e9e377a, v45
	v_mul_u32_u24_e32 v11, 0x2d0, v113
	s_wait_alu 0xf1ff
	v_cndmask_b32_e64 v22, v10, v52, s0
	v_dual_add_f32 v6, v70, v8 :: v_dual_fmac_f32 v9, 0xbf167918, v69
	s_delay_alu instid0(VALU_DEP_1) | instskip(SKIP_1) | instid1(VALU_DEP_2)
	v_dual_sub_f32 v8, v70, v8 :: v_dual_fmac_f32 v9, 0x3e9e377a, v13
	v_mul_lo_u16 v13, 0xb7, v112
	v_add_f32_e32 v3, v9, v12
	v_sub_f32_e32 v5, v9, v12
	v_dual_mul_f32 v9, 0xbf737871, v45 :: v_dual_lshlrev_b32 v12, 3, v114
	s_delay_alu instid0(VALU_DEP_4) | instskip(NEXT) | instid1(VALU_DEP_2)
	v_lshrrev_b16 v20, 14, v13
	v_fmac_f32_e32 v9, 0x3e9e377a, v48
	s_delay_alu instid0(VALU_DEP_3) | instskip(SKIP_1) | instid1(VALU_DEP_3)
	v_add3_u32 v10, 0, v11, v12
	v_mul_i32_i24_e32 v11, 5, v22
	v_dual_mov_b32 v12, 0 :: v_dual_add_f32 v7, v72, v9
	ds_store_2addr_b64 v10, v[35:36], v[2:3] offset1:9
	ds_store_2addr_b64 v10, v[6:7], v[31:32] offset0:18 offset1:27
	ds_store_2addr_b64 v10, v[37:38], v[0:1] offset0:36 offset1:45
	v_lshlrev_b64_e32 v[0:1], 3, v[11:12]
	v_mul_lo_u16 v2, 0x5a, v20
	v_mul_u32_u24_e32 v3, 0x2d83, v111
	v_sub_f32_e32 v9, v72, v9
	ds_store_2addr_b64 v10, v[4:5], v[8:9] offset0:54 offset1:63
	ds_store_2addr_b64 v10, v[33:34], v[39:40] offset0:72 offset1:81
	v_add_co_u32 v0, s0, s8, v0
	v_sub_nc_u16 v2, v56, v2
	v_lshrrev_b32_e32 v19, 20, v3
	s_wait_alu 0xf1ff
	v_add_co_ci_u32_e64 v1, s0, s9, v1, s0
	global_wb scope:SCOPE_SE
	s_wait_dscnt 0x0
	s_barrier_signal -1
	v_mul_lo_u16 v3, 0x5a, v19
	s_barrier_wait -1
	global_inv scope:SCOPE_SE
	global_load_b128 v[24:27], v[0:1], off offset:712
	v_and_b32_e32 v23, 0xff, v2
	v_mul_u32_u24_e32 v4, 0x2d83, v110
	v_sub_nc_u16 v2, v67, v3
	v_cmp_lt_u32_e64 s0, 0x59, v52
	v_and_b32_e32 v20, 0xffff, v20
	v_mul_u32_u24_e32 v3, 5, v23
	v_lshrrev_b32_e32 v15, 20, v4
	v_mul_u32_u24_e32 v4, 0x2d83, v109
	s_delay_alu instid0(VALU_DEP_4) | instskip(NEXT) | instid1(VALU_DEP_4)
	v_mul_u32_u24_e32 v20, 0x10e0, v20
	v_lshlrev_b32_e32 v3, 3, v3
	s_delay_alu instid0(VALU_DEP_3) | instskip(SKIP_3) | instid1(VALU_DEP_2)
	v_lshrrev_b32_e32 v16, 20, v4
	global_load_b128 v[28:31], v3, s[8:9] offset:712
	v_and_b32_e32 v21, 0xffff, v2
	v_mul_lo_u16 v2, 0x5a, v15
	v_mul_u32_u24_e32 v5, 5, v21
	s_delay_alu instid0(VALU_DEP_2) | instskip(NEXT) | instid1(VALU_DEP_1)
	v_sub_nc_u16 v2, v66, v2
	v_and_b32_e32 v18, 0xffff, v2
	v_mul_lo_u16 v2, 0x5a, v16
	s_delay_alu instid0(VALU_DEP_2) | instskip(NEXT) | instid1(VALU_DEP_2)
	v_mul_u32_u24_e32 v4, 5, v18
	v_sub_nc_u16 v2, v65, v2
	s_delay_alu instid0(VALU_DEP_2) | instskip(SKIP_4) | instid1(VALU_DEP_1)
	v_lshlrev_b32_e32 v33, 3, v4
	global_load_b128 v[45:48], v33, s[8:9] offset:712
	v_lshlrev_b32_e32 v32, 3, v5
	global_load_b128 v[41:44], v32, s[8:9] offset:712
	v_and_b32_e32 v17, 0xffff, v2
	v_mul_u32_u24_e32 v2, 5, v17
	s_delay_alu instid0(VALU_DEP_1)
	v_lshlrev_b32_e32 v34, 3, v2
	s_clause 0xa
	global_load_b128 v[68:71], v34, s[8:9] offset:712
	global_load_b64 v[80:81], v[0:1], off offset:728
	global_load_b64 v[125:126], v3, s[8:9] offset:728
	global_load_b64 v[13:14], v32, s[8:9] offset:728
	global_load_b128 v[8:11], v[0:1], off offset:696
	global_load_b128 v[4:7], v3, s[8:9] offset:696
	global_load_b128 v[0:3], v32, s[8:9] offset:696
	;; [unrolled: 1-line block ×4, first 2 shown]
	global_load_b64 v[127:128], v33, s[8:9] offset:728
	global_load_b64 v[129:130], v34, s[8:9] offset:728
	v_add_nc_u32_e32 v32, 0x3000, v82
	ds_load_2addr_b32 v[37:38], v32 offset0:168 offset1:169
	ds_load_2addr_b64 v[32:35], v90 offset0:112 offset1:220
	ds_load_2addr_b64 v[109:112], v91 offset0:64 offset1:172
	;; [unrolled: 1-line block ×5, first 2 shown]
	s_wait_loadcnt_dscnt 0xe05
	v_mul_f32_e32 v36, v38, v25
	v_mul_f32_e32 v131, v25, v37
	s_wait_dscnt 0x4
	v_mul_f32_e32 v25, v33, v27
	v_dual_mul_f32 v133, v32, v27 :: v_dual_lshlrev_b32 v18, 3, v18
	v_fma_f32 v132, v24, v37, -v36
	v_fmac_f32_e32 v131, v38, v24
	s_delay_alu instid0(VALU_DEP_4) | instskip(SKIP_3) | instid1(VALU_DEP_2)
	v_fma_f32 v134, v32, v26, -v25
	s_wait_loadcnt_dscnt 0xd03
	v_mul_f32_e32 v24, v110, v29
	v_dual_mul_f32 v38, v109, v29 :: v_dual_mul_f32 v27, v35, v31
	v_fma_f32 v39, v109, v28, -v24
	s_delay_alu instid0(VALU_DEP_2)
	v_fmac_f32_e32 v38, v110, v28
	ds_load_b64 v[109:110], v108
	v_fma_f32 v40, v34, v30, -v27
	s_wait_loadcnt_dscnt 0xb02
	v_dual_mul_f32 v29, v117, v46 :: v_dual_mul_f32 v24, v114, v44
	v_dual_mul_f32 v32, v111, v42 :: v_dual_mul_f32 v37, v34, v31
	v_fmac_f32_e32 v133, v33, v26
	v_mul_f32_e32 v31, v115, v48
	s_delay_alu instid0(VALU_DEP_4)
	v_fma_f32 v33, v113, v43, -v24
	v_mul_f32_e32 v24, v116, v48
	ds_load_2addr_b64 v[48:51], v88 offset0:120 offset1:228
	v_dual_fmac_f32 v32, v112, v41 :: v_dual_fmac_f32 v37, v35, v30
	v_dual_mul_f32 v34, v113, v44 :: v_dual_mul_f32 v25, v112, v42
	s_wait_loadcnt_dscnt 0x902
	v_mul_f32_e32 v36, v124, v81
	v_mul_f32_e32 v26, v120, v69
	v_fmac_f32_e32 v31, v116, v47
	v_fmac_f32_e32 v34, v114, v43
	v_fma_f32 v35, v111, v41, -v25
	v_mul_f32_e32 v25, v118, v46
	v_mul_f32_e32 v111, v123, v81
	v_fma_f32 v28, v115, v47, -v24
	v_mul_f32_e32 v24, v119, v69
	v_fma_f32 v112, v123, v80, -v36
	v_fma_f32 v30, v117, v45, -v25
	v_mul_f32_e32 v25, v121, v71
	v_fmac_f32_e32 v111, v124, v80
	ds_load_b64 v[80:81], v92
	s_wait_loadcnt_dscnt 0x602
	v_dual_mul_f32 v27, v122, v71 :: v_dual_mul_f32 v114, v9, v109
	v_dual_fmac_f32 v29, v118, v45 :: v_dual_fmac_f32 v24, v120, v68
	ds_load_2addr_b64 v[43:46], v97 offset0:56 offset1:164
	v_fma_f32 v26, v119, v68, -v26
	v_fma_f32 v27, v121, v70, -v27
	s_wait_dscnt 0x2
	v_mul_f32_e32 v47, v51, v14
	v_mul_f32_e32 v14, v50, v14
	v_fmac_f32_e32 v25, v122, v70
	ds_load_2addr_b64 v[68:71], v98 offset0:136 offset1:244
	v_mul_f32_e32 v113, v9, v110
	v_fmac_f32_e32 v114, v8, v110
	v_mul_f32_e32 v36, v49, v126
	v_dual_mul_f32 v41, v48, v126 :: v_dual_fmac_f32 v14, v51, v13
	v_lshlrev_b32_e32 v17, 3, v17
	s_delay_alu instid0(VALU_DEP_3) | instskip(SKIP_2) | instid1(VALU_DEP_1)
	v_fma_f32 v42, v48, v125, -v36
	s_wait_dscnt 0x1
	v_mul_f32_e32 v9, v11, v44
	v_fma_f32 v51, v10, v43, -v9
	s_wait_loadcnt_dscnt 0x500
	v_dual_mul_f32 v110, v68, v5 :: v_dual_mul_f32 v11, v11, v43
	v_mul_f32_e32 v43, v46, v7
	v_fma_f32 v36, v50, v13, -v47
	v_fma_f32 v13, v8, v109, -v113
	s_delay_alu instid0(VALU_DEP_4)
	v_fmac_f32_e32 v110, v69, v4
	v_dual_fmac_f32 v11, v10, v44 :: v_dual_mul_f32 v44, v69, v5
	v_fma_f32 v113, v45, v6, -v43
	v_mul_f32_e32 v109, v45, v7
	ds_load_2addr_b64 v[7:10], v102 offset0:96 offset1:204
	s_wait_loadcnt 0x4
	v_mul_f32_e32 v69, v70, v1
	v_fma_f32 v68, v68, v4, -v44
	ds_load_b64 v[43:44], v82 offset:12096
	v_fmac_f32_e32 v41, v49, v125
	ds_load_2addr_b64 v[47:50], v94 offset0:16 offset1:124
	v_fmac_f32_e32 v69, v71, v0
	s_wait_loadcnt_dscnt 0x300
	v_mul_f32_e32 v45, v50, v75
	v_mul_f32_e32 v115, v47, v3
	s_delay_alu instid0(VALU_DEP_2) | instskip(SKIP_2) | instid1(VALU_DEP_1)
	v_fma_f32 v116, v49, v74, -v45
	v_mul_f32_e32 v49, v49, v75
	s_wait_loadcnt 0x2
	v_dual_fmac_f32 v49, v50, v74 :: v_dual_mul_f32 v74, v9, v77
	v_mul_f32_e32 v5, v71, v1
	v_dual_mul_f32 v1, v48, v3 :: v_dual_mul_f32 v50, v10, v77
	s_delay_alu instid0(VALU_DEP_3) | instskip(SKIP_1) | instid1(VALU_DEP_4)
	v_dual_fmac_f32 v115, v48, v2 :: v_dual_fmac_f32 v74, v10, v76
	v_fmac_f32_e32 v109, v46, v6
	v_fma_f32 v70, v70, v0, -v5
	ds_load_2addr_b64 v[3:6], v100 offset0:80 offset1:188
	v_fma_f32 v71, v47, v2, -v1
	v_mul_f32_e32 v2, v8, v73
	ds_load_b64 v[0:1], v96
	ds_load_b64 v[45:46], v99
	;; [unrolled: 1-line block ×3, first 2 shown]
	v_fma_f32 v50, v9, v76, -v50
	v_mul_f32_e32 v73, v7, v73
	v_fma_f32 v75, v7, v72, -v2
	v_mul_f32_e32 v2, v44, v79
	s_delay_alu instid0(VALU_DEP_1) | instskip(SKIP_3) | instid1(VALU_DEP_2)
	v_fma_f32 v76, v43, v78, -v2
	s_wait_loadcnt_dscnt 0x3
	v_dual_mul_f32 v2, v6, v130 :: v_dual_mul_f32 v77, v3, v128
	v_mul_f32_e32 v7, v4, v128
	v_fma_f32 v117, v5, v129, -v2
	s_delay_alu instid0(VALU_DEP_3) | instskip(SKIP_2) | instid1(VALU_DEP_2)
	v_dual_add_f32 v2, v11, v133 :: v_dual_fmac_f32 v77, v4, v127
	s_wait_dscnt 0x0
	v_add_f32_e32 v4, v48, v11
	v_fmac_f32_e32 v48, -0.5, v2
	v_dual_sub_f32 v2, v51, v134 :: v_dual_fmac_f32 v73, v8, v72
	v_mul_f32_e32 v72, v43, v79
	s_delay_alu instid0(VALU_DEP_1) | instskip(SKIP_3) | instid1(VALU_DEP_2)
	v_fmac_f32_e32 v72, v44, v78
	v_fma_f32 v78, v3, v127, -v7
	v_add_f32_e32 v3, v47, v51
	v_dual_add_f32 v7, v13, v132 :: v_dual_add_f32 v44, v4, v133
	v_dual_add_f32 v8, v3, v134 :: v_dual_add_f32 v3, v132, v112
	v_mul_f32_e32 v79, v5, v130
	v_add_f32_e32 v5, v51, v134
	v_fmamk_f32 v51, v2, 0xbf5db3d7, v48
	s_delay_alu instid0(VALU_DEP_4) | instskip(SKIP_1) | instid1(VALU_DEP_4)
	v_dual_fmac_f32 v48, 0x3f5db3d7, v2 :: v_dual_fmac_f32 v13, -0.5, v3
	v_sub_f32_e32 v3, v131, v111
	v_fma_f32 v43, -0.5, v5, v47
	v_dual_add_f32 v9, v114, v131 :: v_dual_lshlrev_b32 v2, 3, v22
	s_delay_alu instid0(VALU_DEP_3)
	v_fmamk_f32 v10, v3, 0x3f5db3d7, v13
	v_sub_f32_e32 v5, v11, v133
	v_fmac_f32_e32 v13, 0xbf5db3d7, v3
	s_wait_alu 0xf1ff
	v_cndmask_b32_e64 v3, 0, 0x10e0, s0
	v_add_f32_e32 v9, v9, v111
	v_fmamk_f32 v47, v5, 0x3f5db3d7, v43
	v_fmac_f32_e32 v43, 0xbf5db3d7, v5
	v_dual_fmac_f32 v79, v6, v129 :: v_dual_add_f32 v6, v131, v111
	v_mul_f32_e32 v118, -0.5, v13
	v_add3_u32 v111, 0, v3, v2
	v_sub_f32_e32 v5, v44, v9
	s_delay_alu instid0(VALU_DEP_4) | instskip(SKIP_1) | instid1(VALU_DEP_1)
	v_dual_add_f32 v9, v44, v9 :: v_dual_fmac_f32 v114, -0.5, v6
	v_sub_f32_e32 v6, v132, v112
	v_fmamk_f32 v11, v6, 0xbf5db3d7, v114
	v_fmac_f32_e32 v114, 0x3f5db3d7, v6
	s_delay_alu instid0(VALU_DEP_1) | instskip(SKIP_2) | instid1(VALU_DEP_3)
	v_dual_mul_f32 v22, 0x3f5db3d7, v11 :: v_dual_mul_f32 v119, -0.5, v114
	v_fmac_f32_e32 v118, 0x3f5db3d7, v114
	v_add_nc_u32_e32 v114, 0x400, v111
	v_dual_fmac_f32 v22, 0.5, v10 :: v_dual_fmac_f32 v119, 0xbf5db3d7, v13
	v_dual_add_f32 v13, v7, v112 :: v_dual_mul_f32 v112, 0xbf5db3d7, v10
	s_delay_alu instid0(VALU_DEP_4) | instskip(NEXT) | instid1(VALU_DEP_3)
	v_add_f32_e32 v2, v43, v118
	v_dual_sub_f32 v43, v43, v118 :: v_dual_sub_f32 v44, v48, v119
	s_delay_alu instid0(VALU_DEP_4) | instskip(NEXT) | instid1(VALU_DEP_4)
	v_add_f32_e32 v10, v47, v22
	v_dual_fmac_f32 v112, 0.5, v11 :: v_dual_sub_f32 v47, v47, v22
	v_add_f32_e32 v22, v109, v37
	v_add_f32_e32 v118, v46, v109
	v_sub_f32_e32 v4, v8, v13
	v_dual_add_f32 v8, v8, v13 :: v_dual_add_f32 v13, v113, v40
	s_delay_alu instid0(VALU_DEP_4)
	v_fmac_f32_e32 v46, -0.5, v22
	v_add_f32_e32 v22, v39, v42
	v_add_f32_e32 v11, v51, v112
	ds_load_b64 v[6:7], v95
	v_fma_f32 v13, -0.5, v13, v45
	v_dual_add_f32 v3, v48, v119 :: v_dual_sub_f32 v48, v51, v112
	v_add_f32_e32 v112, v45, v113
	v_sub_f32_e32 v45, v109, v37
	global_wb scope:SCOPE_SE
	s_wait_dscnt 0x0
	s_barrier_signal -1
	s_barrier_wait -1
	v_add_f32_e32 v109, v112, v40
	v_dual_sub_f32 v40, v113, v40 :: v_dual_add_f32 v113, v38, v41
	v_dual_add_f32 v119, v68, v39 :: v_dual_fmac_f32 v68, -0.5, v22
	v_sub_f32_e32 v22, v38, v41
	v_add_f32_e32 v38, v110, v38
	v_fmamk_f32 v112, v45, 0x3f5db3d7, v13
	v_fmamk_f32 v120, v40, 0xbf5db3d7, v46
	v_fmac_f32_e32 v46, 0x3f5db3d7, v40
	v_fmac_f32_e32 v110, -0.5, v113
	v_add_f32_e32 v40, v38, v41
	v_fmac_f32_e32 v13, 0xbf5db3d7, v45
	v_fmamk_f32 v113, v22, 0x3f5db3d7, v68
	v_fmac_f32_e32 v68, 0xbf5db3d7, v22
	v_sub_f32_e32 v39, v39, v42
	v_dual_add_f32 v45, v118, v37 :: v_dual_lshlrev_b32 v22, 3, v23
	global_inv scope:SCOPE_SE
	v_dual_mul_f32 v121, -0.5, v68 :: v_dual_fmamk_f32 v118, v39, 0xbf5db3d7, v110
	v_fmac_f32_e32 v110, 0x3f5db3d7, v39
	v_add_nc_u32_e32 v51, 0x800, v111
	v_add3_u32 v20, 0, v20, v22
	s_delay_alu instid0(VALU_DEP_3) | instskip(NEXT) | instid1(VALU_DEP_1)
	v_mul_f32_e32 v122, -0.5, v110
	v_fmac_f32_e32 v122, 0xbf5db3d7, v68
	v_mul_f32_e32 v68, 0x3f5db3d7, v118
	v_dual_fmac_f32 v121, 0x3f5db3d7, v110 :: v_dual_sub_f32 v38, v45, v40
	v_dual_add_f32 v39, v119, v42 :: v_dual_add_f32 v40, v45, v40
	s_delay_alu instid0(VALU_DEP_2) | instskip(SKIP_2) | instid1(VALU_DEP_4)
	v_add_f32_e32 v22, v13, v121
	v_mul_f32_e32 v110, 0xbf5db3d7, v113
	v_dual_fmac_f32 v68, 0.5, v113 :: v_dual_add_f32 v23, v46, v122
	v_sub_f32_e32 v37, v109, v39
	s_delay_alu instid0(VALU_DEP_3) | instskip(SKIP_1) | instid1(VALU_DEP_4)
	v_dual_fmac_f32 v110, 0.5, v118 :: v_dual_add_nc_u32 v113, 0x400, v20
	v_add_f32_e32 v39, v109, v39
	v_add_f32_e32 v41, v112, v68
	s_delay_alu instid0(VALU_DEP_3)
	v_add_f32_e32 v42, v120, v110
	ds_store_2addr_b64 v114, v[2:3], v[4:5] offset0:52 offset1:142
	ds_store_2addr_b64 v111, v[8:9], v[10:11] offset1:90
	ds_store_2addr_b64 v51, v[47:48], v[43:44] offset0:104 offset1:194
	ds_store_2addr_b64 v113, v[22:23], v[37:38] offset0:52 offset1:142
	ds_store_2addr_b64 v20, v[39:40], v[41:42] offset1:90
	v_add_f32_e32 v8, v1, v115
	v_dual_sub_f32 v2, v13, v121 :: v_dual_sub_f32 v5, v120, v110
	v_add_f32_e32 v22, v35, v36
	v_dual_add_f32 v10, v32, v14 :: v_dual_add_nc_u32 v13, 0x800, v20
	v_add_f32_e32 v9, v115, v34
	v_dual_sub_f32 v20, v115, v34 :: v_dual_add_f32 v11, v0, v71
	v_add_f32_e32 v23, v69, v32
	s_delay_alu instid0(VALU_DEP_4)
	v_dual_fmac_f32 v69, -0.5, v10 :: v_dual_add_f32 v10, v70, v35
	v_dual_sub_f32 v35, v35, v36 :: v_dual_fmac_f32 v70, -0.5, v22
	v_sub_f32_e32 v22, v32, v14
	v_dual_add_f32 v32, v8, v34 :: v_dual_fmac_f32 v1, -0.5, v9
	v_add_f32_e32 v34, v11, v33
	v_dual_add_f32 v11, v71, v33 :: v_dual_add_f32 v36, v10, v36
	s_delay_alu instid0(VALU_DEP_4) | instskip(SKIP_3) | instid1(VALU_DEP_4)
	v_dual_fmamk_f32 v9, v22, 0x3f5db3d7, v70 :: v_dual_add_f32 v14, v23, v14
	v_fmamk_f32 v8, v35, 0xbf5db3d7, v69
	v_mul_u32_u24_e32 v10, 0x10e0, v19
	v_lshlrev_b32_e32 v19, 3, v21
	v_mul_f32_e32 v38, 0xbf5db3d7, v9
	v_sub_f32_e32 v33, v71, v33
	v_fma_f32 v0, -0.5, v11, v0
	v_dual_sub_f32 v3, v46, v122 :: v_dual_sub_f32 v4, v112, v68
	s_delay_alu instid0(VALU_DEP_4)
	v_fmac_f32_e32 v38, 0.5, v8
	v_add3_u32 v39, 0, v10, v19
	v_fmamk_f32 v21, v33, 0xbf5db3d7, v1
	v_fmac_f32_e32 v1, 0x3f5db3d7, v33
	v_fmamk_f32 v19, v20, 0x3f5db3d7, v0
	v_fmac_f32_e32 v69, 0x3f5db3d7, v35
	v_mul_f32_e32 v37, 0x3f5db3d7, v8
	v_fmac_f32_e32 v70, 0xbf5db3d7, v22
	ds_store_2addr_b64 v13, v[4:5], v[2:3] offset0:104 offset1:194
	v_dual_add_f32 v5, v116, v28 :: v_dual_mul_f32 v22, -0.5, v69
	v_dual_fmac_f32 v37, 0.5, v9 :: v_dual_add_f32 v8, v34, v36
	v_dual_add_f32 v9, v32, v14 :: v_dual_fmac_f32 v0, 0xbf5db3d7, v20
	s_delay_alu instid0(VALU_DEP_3) | instskip(SKIP_3) | instid1(VALU_DEP_4)
	v_fmac_f32_e32 v22, 0xbf5db3d7, v70
	v_add_f32_e32 v11, v21, v38
	v_sub_f32_e32 v20, v29, v77
	v_add_f32_e32 v13, v7, v49
	v_dual_add_f32 v33, v26, v117 :: v_dual_add_f32 v2, v1, v22
	v_dual_add_f32 v10, v19, v37 :: v_dual_mul_f32 v23, -0.5, v70
	ds_store_2addr_b64 v39, v[8:9], v[10:11] offset1:90
	v_dual_sub_f32 v10, v19, v37 :: v_dual_sub_f32 v9, v32, v14
	v_dual_add_f32 v14, v49, v31 :: v_dual_fmac_f32 v23, 0x3f5db3d7, v69
	v_sub_f32_e32 v4, v1, v22
	v_dual_sub_f32 v11, v21, v38 :: v_dual_sub_f32 v8, v34, v36
	s_delay_alu instid0(VALU_DEP_3) | instskip(NEXT) | instid1(VALU_DEP_4)
	v_fmac_f32_e32 v7, -0.5, v14
	v_add_f32_e32 v1, v0, v23
	v_sub_f32_e32 v3, v0, v23
	v_fma_f32 v0, -0.5, v5, v6
	v_dual_sub_f32 v5, v49, v31 :: v_dual_add_f32 v14, v75, v30
	v_add_f32_e32 v6, v6, v116
	v_add_f32_e32 v36, v50, v26
	v_fmac_f32_e32 v50, -0.5, v33
	s_delay_alu instid0(VALU_DEP_4) | instskip(SKIP_3) | instid1(VALU_DEP_3)
	v_fmamk_f32 v23, v5, 0x3f5db3d7, v0
	v_dual_fmac_f32 v0, 0xbf5db3d7, v5 :: v_dual_add_f32 v5, v30, v78
	v_add_f32_e32 v14, v14, v78
	v_sub_f32_e32 v26, v26, v117
	v_fmac_f32_e32 v75, -0.5, v5
	s_delay_alu instid0(VALU_DEP_1) | instskip(SKIP_2) | instid1(VALU_DEP_3)
	v_dual_fmamk_f32 v22, v20, 0x3f5db3d7, v75 :: v_dual_add_f32 v19, v13, v31
	v_add_f32_e32 v13, v29, v77
	v_add_f32_e32 v5, v73, v29
	v_dual_fmac_f32 v75, 0xbf5db3d7, v20 :: v_dual_mul_f32 v32, 0xbf5db3d7, v22
	s_delay_alu instid0(VALU_DEP_3) | instskip(NEXT) | instid1(VALU_DEP_3)
	v_fmac_f32_e32 v73, -0.5, v13
	v_add_f32_e32 v29, v5, v77
	v_sub_f32_e32 v13, v30, v78
	s_delay_alu instid0(VALU_DEP_1) | instskip(NEXT) | instid1(VALU_DEP_1)
	v_dual_sub_f32 v21, v116, v28 :: v_dual_fmamk_f32 v20, v13, 0xbf5db3d7, v73
	v_mul_f32_e32 v30, 0x3f5db3d7, v20
	v_dual_fmac_f32 v32, 0.5, v20 :: v_dual_fmac_f32 v73, 0x3f5db3d7, v13
	s_delay_alu instid0(VALU_DEP_2) | instskip(NEXT) | instid1(VALU_DEP_2)
	v_dual_fmac_f32 v30, 0.5, v22 :: v_dual_add_f32 v13, v6, v28
	v_mul_f32_e32 v28, -0.5, v73
	s_delay_alu instid0(VALU_DEP_2) | instskip(NEXT) | instid1(VALU_DEP_2)
	v_dual_add_f32 v6, v19, v29 :: v_dual_add_f32 v5, v13, v14
	v_dual_fmac_f32 v28, 0xbf5db3d7, v75 :: v_dual_sub_f32 v13, v13, v14
	v_dual_sub_f32 v14, v19, v29 :: v_dual_fmamk_f32 v31, v21, 0xbf5db3d7, v7
	v_fmac_f32_e32 v7, 0x3f5db3d7, v21
	s_delay_alu instid0(VALU_DEP_1) | instskip(SKIP_3) | instid1(VALU_DEP_2)
	v_dual_add_f32 v29, v76, v27 :: v_dual_add_f32 v20, v7, v28
	v_sub_f32_e32 v22, v7, v28
	v_dual_add_f32 v28, v23, v30 :: v_dual_mul_f32 v21, -0.5, v75
	v_dual_sub_f32 v7, v72, v25 :: v_dual_sub_f32 v30, v23, v30
	v_fmac_f32_e32 v21, 0x3f5db3d7, v73
	s_delay_alu instid0(VALU_DEP_1) | instskip(SKIP_4) | instid1(VALU_DEP_3)
	v_add_f32_e32 v19, v0, v21
	v_sub_f32_e32 v21, v0, v21
	v_fma_f32 v0, -0.5, v29, v80
	v_add_f32_e32 v29, v31, v32
	v_dual_sub_f32 v31, v31, v32 :: v_dual_add_f32 v32, v72, v25
	v_fmamk_f32 v34, v7, 0x3f5db3d7, v0
	v_dual_fmac_f32 v0, 0xbf5db3d7, v7 :: v_dual_add_f32 v7, v81, v72
	s_delay_alu instid0(VALU_DEP_1) | instskip(SKIP_3) | instid1(VALU_DEP_2)
	v_add_f32_e32 v7, v7, v25
	v_add_f32_e32 v33, v74, v24
	v_dual_fmac_f32 v81, -0.5, v32 :: v_dual_add_f32 v32, v24, v79
	v_sub_f32_e32 v24, v24, v79
	v_fmac_f32_e32 v74, -0.5, v32
	s_delay_alu instid0(VALU_DEP_2) | instskip(SKIP_3) | instid1(VALU_DEP_4)
	v_fmamk_f32 v25, v24, 0x3f5db3d7, v50
	v_add_f32_e32 v23, v80, v76
	v_fmac_f32_e32 v50, 0xbf5db3d7, v24
	v_add_f32_e32 v32, v36, v117
	v_mul_f32_e32 v36, 0xbf5db3d7, v25
	s_delay_alu instid0(VALU_DEP_3) | instskip(SKIP_4) | instid1(VALU_DEP_3)
	v_dual_mul_f32 v38, -0.5, v50 :: v_dual_sub_f32 v35, v76, v27
	v_add_f32_e32 v27, v23, v27
	v_fmamk_f32 v23, v26, 0xbf5db3d7, v74
	v_fmac_f32_e32 v74, 0x3f5db3d7, v26
	v_add_f32_e32 v26, v33, v79
	v_fmac_f32_e32 v36, 0.5, v23
	s_delay_alu instid0(VALU_DEP_3) | instskip(SKIP_3) | instid1(VALU_DEP_3)
	v_fmac_f32_e32 v38, 0x3f5db3d7, v74
	v_dual_mul_f32 v40, -0.5, v74 :: v_dual_fmamk_f32 v37, v35, 0xbf5db3d7, v81
	v_fmac_f32_e32 v81, 0x3f5db3d7, v35
	v_mul_f32_e32 v35, 0x3f5db3d7, v23
	v_dual_add_f32 v23, v27, v32 :: v_dual_fmac_f32 v40, 0xbf5db3d7, v50
	s_delay_alu instid0(VALU_DEP_4) | instskip(NEXT) | instid1(VALU_DEP_3)
	v_add_f32_e32 v33, v37, v36
	v_fmac_f32_e32 v35, 0.5, v25
	v_sub_f32_e32 v25, v27, v32
	v_add_nc_u32_e32 v27, 0x800, v39
	s_delay_alu instid0(VALU_DEP_3)
	v_add_f32_e32 v32, v34, v35
	v_add_f32_e32 v24, v7, v26
	v_sub_f32_e32 v26, v7, v26
	v_mul_u32_u24_e32 v7, 0x10e0, v15
	v_dual_sub_f32 v34, v34, v35 :: v_dual_sub_f32 v35, v37, v36
	v_add_f32_e32 v36, v0, v38
	v_dual_sub_f32 v15, v0, v38 :: v_dual_add_nc_u32 v0, 0x400, v39
	s_delay_alu instid0(VALU_DEP_4)
	v_add3_u32 v7, 0, v7, v18
	v_mul_u32_u24_e32 v18, 0x10e0, v16
	v_sub_f32_e32 v16, v81, v40
	ds_store_2addr_b64 v27, v[10:11], v[3:4] offset0:104 offset1:194
	ds_store_2addr_b64 v0, v[1:2], v[8:9] offset0:52 offset1:142
	v_add_nc_u32_e32 v0, 0x400, v7
	v_add3_u32 v1, 0, v18, v17
	v_add_nc_u32_e32 v2, 0x800, v7
	v_mul_i32_i24_e32 v11, 5, v56
	v_add_f32_e32 v37, v81, v40
	ds_store_2addr_b64 v7, v[5:6], v[28:29] offset1:90
	ds_store_2addr_b64 v0, v[19:20], v[13:14] offset0:52 offset1:142
	v_add_nc_u32_e32 v0, 0x400, v1
	v_mul_u32_u24_e32 v4, 5, v52
	v_add_nc_u32_e32 v3, 0x800, v1
	ds_store_2addr_b64 v2, v[30:31], v[21:22] offset0:104 offset1:194
	ds_store_2addr_b64 v1, v[23:24], v[32:33] offset1:90
	ds_store_2addr_b64 v0, v[36:37], v[25:26] offset0:52 offset1:142
	v_lshlrev_b64_e32 v[0:1], 3, v[11:12]
	v_mul_i32_i24_e32 v11, 5, v67
	v_lshlrev_b32_e32 v49, 3, v4
	ds_store_2addr_b64 v3, v[34:35], v[15:16] offset0:104 offset1:194
	global_wb scope:SCOPE_SE
	s_wait_dscnt 0x0
	s_barrier_signal -1
	v_add_co_u32 v0, s0, s8, v0
	s_barrier_wait -1
	global_inv scope:SCOPE_SE
	global_load_b128 v[2:5], v49, s[8:9] offset:4296
	s_wait_alu 0xf1ff
	v_add_co_ci_u32_e64 v1, s0, s9, v1, s0
	v_lshlrev_b64_e32 v[13:14], 3, v[11:12]
	v_mul_i32_i24_e32 v11, 5, v66
	global_load_b128 v[6:9], v[0:1], off offset:4296
	v_lshlrev_b64_e32 v[17:18], 3, v[11:12]
	v_add_co_u32 v45, s0, s8, v13
	s_wait_alu 0xf1ff
	v_add_co_ci_u32_e64 v46, s0, s9, v14, s0
	v_mul_i32_i24_e32 v11, 5, v65
	s_delay_alu instid0(VALU_DEP_4)
	v_add_co_u32 v47, s0, s8, v17
	global_load_b128 v[13:16], v[45:46], off offset:4296
	s_wait_alu 0xf1ff
	v_add_co_ci_u32_e64 v48, s0, s9, v18, s0
	v_lshlrev_b64_e32 v[10:11], 3, v[11:12]
	global_load_b128 v[17:20], v[47:48], off offset:4296
	v_add_co_u32 v10, s0, s8, v10
	s_wait_alu 0xf1ff
	v_add_co_ci_u32_e64 v11, s0, s9, v11, s0
	s_clause 0xa
	global_load_b128 v[21:24], v[10:11], off offset:4296
	global_load_b128 v[25:28], v49, s[8:9] offset:4312
	global_load_b128 v[29:32], v[0:1], off offset:4312
	global_load_b128 v[33:36], v[45:46], off offset:4312
	;; [unrolled: 1-line block ×4, first 2 shown]
	global_load_b64 v[49:50], v49, s[8:9] offset:4328
	global_load_b64 v[80:81], v[0:1], off offset:4328
	global_load_b64 v[109:110], v[45:46], off offset:4328
	global_load_b64 v[111:112], v[47:48], off offset:4328
	global_load_b64 v[113:114], v[10:11], off offset:4328
	ds_load_b64 v[10:11], v108
	ds_load_2addr_b64 v[45:48], v97 offset0:56 offset1:164
	ds_load_2addr_b64 v[68:71], v98 offset0:136 offset1:244
	ds_load_b64 v[0:1], v92
	ds_load_2addr_b64 v[72:75], v94 offset0:16 offset1:124
	ds_load_2addr_b64 v[76:79], v102 offset0:96 offset1:204
	s_wait_loadcnt_dscnt 0xe05
	v_mul_f32_e32 v51, v3, v11
	v_mul_f32_e32 v94, v3, v10
	s_wait_dscnt 0x4
	v_mul_f32_e32 v3, v5, v46
	v_mul_f32_e32 v97, v5, v45
	v_fma_f32 v51, v2, v10, -v51
	v_fmac_f32_e32 v94, v2, v11
	s_wait_loadcnt 0xd
	v_mul_f32_e32 v2, v48, v9
	s_wait_dscnt 0x3
	v_dual_mul_f32 v98, v47, v9 :: v_dual_mul_f32 v115, v68, v7
	s_delay_alu instid0(VALU_DEP_2) | instskip(NEXT) | instid1(VALU_DEP_2)
	v_fma_f32 v108, v47, v8, -v2
	v_fmac_f32_e32 v98, v48, v8
	v_mul_f32_e32 v2, v69, v7
	ds_load_2addr_b64 v[7:10], v93 offset0:104 offset1:212
	s_wait_loadcnt_dscnt 0xc02
	v_mul_f32_e32 v118, v72, v16
	v_fma_f32 v102, v4, v45, -v3
	v_fma_f32 v116, v68, v6, -v2
	v_mul_f32_e32 v2, v73, v16
	s_delay_alu instid0(VALU_DEP_4) | instskip(NEXT) | instid1(VALU_DEP_2)
	v_fmac_f32_e32 v118, v73, v15
	v_fma_f32 v72, v72, v15, -v2
	s_wait_loadcnt 0xb
	v_dual_mul_f32 v2, v75, v20 :: v_dual_fmac_f32 v97, v4, v46
	ds_load_2addr_b64 v[45:48], v90 offset0:112 offset1:220
	v_fma_f32 v11, v74, v19, -v2
	s_wait_loadcnt_dscnt 0xa02
	v_mul_f32_e32 v2, v78, v22
	v_fmac_f32_e32 v115, v69, v6
	s_wait_dscnt 0x1
	v_dual_mul_f32 v93, v70, v14 :: v_dual_mul_f32 v6, v7, v24
	v_mul_f32_e32 v3, v71, v14
	v_fmac_f32_e32 v2, v79, v21
	s_wait_loadcnt 0x9
	v_mul_f32_e32 v73, v26, v9
	v_dual_fmac_f32 v93, v71, v13 :: v_dual_fmac_f32 v6, v8, v23
	v_fma_f32 v117, v70, v13, -v3
	v_mul_f32_e32 v3, v77, v18
	v_mul_f32_e32 v13, v76, v18
	ds_load_2addr_b64 v[68:71], v91 offset0:64 offset1:172
	v_fmac_f32_e32 v73, v25, v10
	v_fma_f32 v14, v76, v17, -v3
	s_wait_loadcnt_dscnt 0x801
	v_mul_f32_e32 v76, v47, v32
	v_mul_f32_e32 v119, v74, v20
	;; [unrolled: 1-line block ×3, first 2 shown]
	s_delay_alu instid0(VALU_DEP_3) | instskip(NEXT) | instid1(VALU_DEP_2)
	v_fmac_f32_e32 v76, v48, v31
	v_dual_fmac_f32 v74, v46, v27 :: v_dual_fmac_f32 v13, v77, v17
	ds_load_2addr_b64 v[15:18], v89 offset0:72 offset1:180
	v_mul_f32_e32 v3, v79, v22
	v_mul_f32_e32 v5, v8, v24
	v_fmac_f32_e32 v119, v75, v19
	s_delay_alu instid0(VALU_DEP_3) | instskip(NEXT) | instid1(VALU_DEP_3)
	v_fma_f32 v4, v78, v21, -v3
	v_fma_f32 v3, v7, v23, -v5
	v_mul_f32_e32 v5, v26, v10
	ds_load_2addr_b64 v[19:22], v101 offset0:24 offset1:132
	v_mul_f32_e32 v7, v46, v28
	v_fma_f32 v75, v25, v9, -v5
	ds_load_2addr_b64 v[23:26], v57 offset0:32 offset1:140
	v_mul_f32_e32 v5, v48, v32
	v_fma_f32 v45, v45, v27, -v7
	s_wait_loadcnt_dscnt 0x703
	v_mul_f32_e32 v7, v71, v34
	s_wait_dscnt 0x2
	v_mul_f32_e32 v48, v15, v36
	s_delay_alu instid0(VALU_DEP_2) | instskip(NEXT) | instid1(VALU_DEP_2)
	v_fma_f32 v57, v70, v33, -v7
	v_fmac_f32_e32 v48, v16, v35
	s_wait_loadcnt_dscnt 0x601
	v_mul_f32_e32 v7, v20, v38
	s_wait_loadcnt 0x5
	v_mul_f32_e32 v8, v22, v42
	v_fma_f32 v46, v47, v31, -v5
	v_mul_f32_e32 v31, v68, v30
	v_mul_f32_e32 v5, v69, v30
	v_mul_f32_e32 v47, v70, v34
	v_fma_f32 v77, v19, v37, -v7
	v_mul_f32_e32 v70, v17, v40
	v_fmac_f32_e32 v31, v69, v29
	v_mul_f32_e32 v69, v19, v38
	s_wait_loadcnt_dscnt 0x400
	v_mul_f32_e32 v19, v26, v50
	v_dual_fmac_f32 v47, v71, v33 :: v_dual_fmac_f32 v70, v18, v39
	v_mul_f32_e32 v9, v21, v42
	v_fma_f32 v10, v21, v41, -v8
	s_delay_alu instid0(VALU_DEP_4)
	v_fma_f32 v33, v25, v49, -v19
	v_mul_f32_e32 v25, v25, v50
	v_fmac_f32_e32 v69, v20, v37
	ds_load_b64 v[19:20], v82
	v_add_f32_e32 v37, v51, v75
	v_add_f32_e32 v34, v75, v33
	v_fma_f32 v32, v68, v29, -v5
	ds_load_2addr_b64 v[27:30], v88 offset0:120 offset1:228
	v_mul_f32_e32 v5, v16, v36
	v_dual_fmac_f32 v25, v26, v49 :: v_dual_add_f32 v42, v108, v46
	s_delay_alu instid0(VALU_DEP_2) | instskip(SKIP_4) | instid1(VALU_DEP_2)
	v_fma_f32 v68, v15, v35, -v5
	v_mul_f32_e32 v5, v18, v40
	s_wait_loadcnt_dscnt 0x200
	v_mul_f32_e32 v49, v29, v110
	v_dual_mul_f32 v21, v30, v110 :: v_dual_mul_f32 v8, v28, v81
	v_dual_fmac_f32 v49, v30, v109 :: v_dual_add_f32 v30, v97, v74
	v_fma_f32 v71, v17, v39, -v5
	ds_load_2addr_b64 v[15:18], v100 offset0:80 offset1:188
	v_fma_f32 v50, v29, v109, -v21
	v_dual_add_f32 v39, v20, v97 :: v_dual_fmac_f32 v20, -0.5, v30
	v_fma_f32 v36, v27, v80, -v8
	s_wait_loadcnt_dscnt 0x100
	v_dual_fmac_f32 v51, -0.5, v34 :: v_dual_mul_f32 v78, v15, v112
	s_wait_loadcnt 0x0
	v_mul_f32_e32 v26, v18, v114
	v_mul_f32_e32 v8, v17, v114
	s_delay_alu instid0(VALU_DEP_3) | instskip(SKIP_2) | instid1(VALU_DEP_4)
	v_dual_fmac_f32 v78, v16, v111 :: v_dual_add_f32 v29, v73, v25
	v_add_f32_e32 v38, v94, v73
	v_sub_f32_e32 v34, v73, v25
	v_fmac_f32_e32 v8, v18, v113
	s_delay_alu instid0(VALU_DEP_4) | instskip(SKIP_2) | instid1(VALU_DEP_2)
	v_fmac_f32_e32 v94, -0.5, v29
	v_sub_f32_e32 v29, v75, v33
	v_add_f32_e32 v33, v37, v33
	v_dual_add_f32 v37, v38, v25 :: v_dual_fmamk_f32 v30, v29, 0xbf5db3d7, v94
	v_mul_f32_e32 v35, v27, v81
	v_dual_fmac_f32 v94, 0x3f5db3d7, v29 :: v_dual_fmamk_f32 v29, v34, 0x3f5db3d7, v51
	v_dual_fmac_f32 v51, 0xbf5db3d7, v34 :: v_dual_sub_f32 v34, v102, v45
	s_delay_alu instid0(VALU_DEP_4) | instskip(NEXT) | instid1(VALU_DEP_4)
	v_dual_mul_f32 v7, v24, v44 :: v_dual_mul_f32 v38, 0x3f5db3d7, v30
	v_fmac_f32_e32 v35, v28, v80
	v_fma_f32 v80, v17, v113, -v26
	s_delay_alu instid0(VALU_DEP_4)
	v_dual_mul_f32 v26, -0.5, v51 :: v_dual_fmac_f32 v9, v22, v41
	v_fmamk_f32 v41, v34, 0xbf5db3d7, v20
	v_fmac_f32_e32 v20, 0x3f5db3d7, v34
	v_dual_add_f32 v34, v39, v74 :: v_dual_mul_f32 v39, 0xbf5db3d7, v29
	v_sub_f32_e32 v28, v97, v74
	v_fma_f32 v7, v23, v43, -v7
	v_dual_mul_f32 v21, v16, v112 :: v_dual_fmac_f32 v26, 0x3f5db3d7, v94
	s_delay_alu instid0(VALU_DEP_4) | instskip(NEXT) | instid1(VALU_DEP_1)
	v_fmac_f32_e32 v39, 0.5, v30
	v_dual_add_f32 v27, v102, v45 :: v_dual_add_f32 v30, v41, v39
	s_delay_alu instid0(VALU_DEP_1) | instskip(SKIP_2) | instid1(VALU_DEP_3)
	v_fma_f32 v27, -0.5, v27, v19
	v_mul_f32_e32 v5, v23, v44
	v_dual_add_f32 v19, v19, v102 :: v_dual_add_f32 v44, v116, v32
	v_fmamk_f32 v40, v28, 0x3f5db3d7, v27
	s_delay_alu instid0(VALU_DEP_3) | instskip(SKIP_3) | instid1(VALU_DEP_3)
	v_fmac_f32_e32 v5, v24, v43
	v_add_f32_e32 v43, v32, v36
	v_dual_sub_f32 v32, v32, v36 :: v_dual_mul_f32 v17, -0.5, v94
	v_dual_fmac_f32 v27, 0xbf5db3d7, v28 :: v_dual_add_f32 v28, v19, v45
	v_fmac_f32_e32 v116, -0.5, v43
	v_add_f32_e32 v45, v115, v31
	s_delay_alu instid0(VALU_DEP_4) | instskip(NEXT) | instid1(VALU_DEP_4)
	v_fmac_f32_e32 v17, 0xbf5db3d7, v51
	v_sub_f32_e32 v19, v27, v26
	v_add_f32_e32 v25, v28, v33
	s_delay_alu instid0(VALU_DEP_3)
	v_add_f32_e32 v18, v20, v17
	v_dual_sub_f32 v20, v20, v17 :: v_dual_add_f32 v17, v27, v26
	v_sub_f32_e32 v27, v28, v33
	v_sub_f32_e32 v28, v34, v37
	v_fma_f32 v79, v15, v111, -v21
	ds_load_b64 v[15:16], v99
	ds_load_b64 v[21:22], v96
	;; [unrolled: 1-line block ×3, first 2 shown]
	v_add_f32_e32 v26, v34, v37
	v_add_f32_e32 v75, v117, v57
	global_wb scope:SCOPE_SE
	s_wait_dscnt 0x0
	s_barrier_signal -1
	s_barrier_wait -1
	global_inv scope:SCOPE_SE
	v_fma_f32 v37, -0.5, v42, v15
	v_dual_add_f32 v42, v98, v76 :: v_dual_add_f32 v43, v16, v98
	s_delay_alu instid0(VALU_DEP_1) | instskip(SKIP_3) | instid1(VALU_DEP_2)
	v_fmac_f32_e32 v16, -0.5, v42
	v_fmac_f32_e32 v38, 0.5, v29
	v_add_f32_e32 v34, v31, v35
	v_sub_f32_e32 v31, v31, v35
	v_fmac_f32_e32 v115, -0.5, v34
	s_delay_alu instid0(VALU_DEP_2) | instskip(SKIP_1) | instid1(VALU_DEP_3)
	v_fmamk_f32 v51, v31, 0x3f5db3d7, v116
	v_dual_fmac_f32 v116, 0xbf5db3d7, v31 :: v_dual_sub_f32 v31, v40, v38
	v_fmamk_f32 v42, v32, 0xbf5db3d7, v115
	v_dual_fmac_f32 v115, 0x3f5db3d7, v32 :: v_dual_sub_f32 v32, v108, v46
	s_delay_alu instid0(VALU_DEP_1)
	v_fmamk_f32 v74, v32, 0xbf5db3d7, v16
	v_fmac_f32_e32 v16, 0x3f5db3d7, v32
	v_dual_sub_f32 v32, v41, v39 :: v_dual_add_f32 v39, v43, v76
	v_add_f32_e32 v43, v45, v35
	v_dual_add_f32 v29, v40, v38 :: v_dual_mul_f32 v38, -0.5, v115
	v_dual_mul_f32 v45, 0xbf5db3d7, v51 :: v_dual_mul_f32 v40, -0.5, v116
	v_dual_add_f32 v41, v44, v36 :: v_dual_mul_f32 v44, 0x3f5db3d7, v42
	s_delay_alu instid0(VALU_DEP_3) | instskip(SKIP_1) | instid1(VALU_DEP_4)
	v_fmac_f32_e32 v38, 0xbf5db3d7, v116
	v_sub_f32_e32 v33, v98, v76
	v_fmac_f32_e32 v45, 0.5, v42
	v_add_f32_e32 v15, v15, v108
	v_add_f32_e32 v42, v72, v68
	v_fmac_f32_e32 v40, 0x3f5db3d7, v115
	v_add_f32_e32 v34, v16, v38
	v_dual_sub_f32 v16, v16, v38 :: v_dual_fmamk_f32 v73, v33, 0x3f5db3d7, v37
	v_add_f32_e32 v38, v15, v46
	v_fma_f32 v46, -0.5, v42, v21
	v_dual_sub_f32 v42, v118, v48 :: v_dual_fmac_f32 v37, 0xbf5db3d7, v33
	s_delay_alu instid0(VALU_DEP_3) | instskip(SKIP_1) | instid1(VALU_DEP_3)
	v_dual_add_f32 v76, v93, v47 :: v_dual_add_f32 v35, v38, v41
	v_add_f32_e32 v36, v39, v43
	v_dual_fmac_f32 v44, 0.5, v51 :: v_dual_add_f32 v33, v37, v40
	v_sub_f32_e32 v15, v37, v40
	v_sub_f32_e32 v37, v38, v41
	v_add_f32_e32 v41, v47, v49
	v_dual_sub_f32 v38, v39, v43 :: v_dual_add_f32 v43, v118, v48
	v_sub_f32_e32 v47, v47, v49
	v_add_f32_e32 v49, v76, v49
	s_delay_alu instid0(VALU_DEP_4) | instskip(SKIP_4) | instid1(VALU_DEP_4)
	v_fmac_f32_e32 v93, -0.5, v41
	v_sub_f32_e32 v41, v57, v50
	v_add_f32_e32 v76, v77, v79
	v_add_f32_e32 v51, v57, v50
	;; [unrolled: 1-line block ×3, first 2 shown]
	v_fmamk_f32 v57, v41, 0xbf5db3d7, v93
	s_delay_alu instid0(VALU_DEP_3) | instskip(SKIP_2) | instid1(VALU_DEP_3)
	v_fmac_f32_e32 v117, -0.5, v51
	v_dual_add_f32 v51, v22, v118 :: v_dual_fmac_f32 v22, -0.5, v43
	v_sub_f32_e32 v43, v72, v68
	v_fmamk_f32 v81, v47, 0x3f5db3d7, v117
	s_delay_alu instid0(VALU_DEP_3) | instskip(SKIP_1) | instid1(VALU_DEP_3)
	v_dual_add_f32 v48, v51, v48 :: v_dual_mul_f32 v51, 0x3f5db3d7, v57
	v_fmac_f32_e32 v117, 0xbf5db3d7, v47
	v_dual_fmamk_f32 v89, v43, 0xbf5db3d7, v22 :: v_dual_mul_f32 v72, 0xbf5db3d7, v81
	s_delay_alu instid0(VALU_DEP_3) | instskip(SKIP_4) | instid1(VALU_DEP_1)
	v_dual_fmac_f32 v22, 0x3f5db3d7, v43 :: v_dual_fmac_f32 v51, 0.5, v81
	v_dual_add_f32 v81, v14, v77 :: v_dual_fmac_f32 v14, -0.5, v76
	v_add_f32_e32 v76, v24, v119
	v_add_f32_e32 v50, v75, v50
	v_dual_add_f32 v75, v119, v70 :: v_dual_mul_f32 v88, -0.5, v117
	v_dual_fmac_f32 v24, -0.5, v75 :: v_dual_fmac_f32 v93, 0x3f5db3d7, v41
	s_delay_alu instid0(VALU_DEP_1) | instskip(NEXT) | instid1(VALU_DEP_3)
	v_mul_f32_e32 v47, -0.5, v93
	v_dual_fmac_f32 v88, 0x3f5db3d7, v93 :: v_dual_add_f32 v39, v73, v44
	v_sub_f32_e32 v41, v73, v44
	v_fmamk_f32 v73, v42, 0x3f5db3d7, v46
	s_delay_alu instid0(VALU_DEP_4) | instskip(NEXT) | instid1(VALU_DEP_1)
	v_dual_fmac_f32 v47, 0xbf5db3d7, v117 :: v_dual_fmac_f32 v46, 0xbf5db3d7, v42
	v_add_f32_e32 v44, v22, v47
	v_sub_f32_e32 v22, v22, v47
	s_delay_alu instid0(VALU_DEP_3) | instskip(SKIP_4) | instid1(VALU_DEP_3)
	v_add_f32_e32 v43, v46, v88
	v_add_f32_e32 v47, v21, v68
	v_dual_sub_f32 v21, v46, v88 :: v_dual_add_f32 v68, v69, v78
	v_add_f32_e32 v88, v13, v69
	v_dual_sub_f32 v69, v69, v78 :: v_dual_add_f32 v46, v48, v49
	v_dual_sub_f32 v48, v48, v49 :: v_dual_fmac_f32 v13, -0.5, v68
	v_sub_f32_e32 v68, v77, v79
	s_delay_alu instid0(VALU_DEP_3) | instskip(SKIP_2) | instid1(VALU_DEP_2)
	v_fmamk_f32 v77, v69, 0x3f5db3d7, v14
	v_dual_fmac_f32 v14, 0xbf5db3d7, v69 :: v_dual_sub_f32 v69, v11, v71
	v_add_f32_e32 v49, v73, v51
	v_fmamk_f32 v91, v69, 0xbf5db3d7, v24
	v_fmamk_f32 v75, v68, 0xbf5db3d7, v13
	v_dual_fmac_f32 v13, 0x3f5db3d7, v68 :: v_dual_sub_f32 v68, v73, v51
	v_dual_fmac_f32 v24, 0x3f5db3d7, v69 :: v_dual_mul_f32 v73, -0.5, v14
	s_delay_alu instid0(VALU_DEP_2) | instskip(NEXT) | instid1(VALU_DEP_2)
	v_mul_f32_e32 v51, -0.5, v13
	v_fmac_f32_e32 v73, 0x3f5db3d7, v13
	s_delay_alu instid0(VALU_DEP_2) | instskip(NEXT) | instid1(VALU_DEP_1)
	v_fmac_f32_e32 v51, 0xbf5db3d7, v14
	v_add_f32_e32 v14, v24, v51
	v_dual_fmac_f32 v72, 0.5, v57 :: v_dual_add_f32 v57, v11, v71
	v_add_f32_e32 v40, v74, v45
	v_sub_f32_e32 v42, v74, v45
	v_sub_f32_e32 v74, v119, v70
	v_add_f32_e32 v11, v23, v11
	v_fma_f32 v57, -0.5, v57, v23
	v_sub_f32_e32 v24, v24, v51
	v_dual_add_f32 v51, v76, v70 :: v_dual_mul_f32 v76, 0x3f5db3d7, v75
	s_delay_alu instid0(VALU_DEP_3)
	v_dual_add_f32 v11, v11, v71 :: v_dual_fmamk_f32 v90, v74, 0x3f5db3d7, v57
	v_fmac_f32_e32 v57, 0xbf5db3d7, v74
	v_add_f32_e32 v74, v88, v78
	v_dual_mul_f32 v78, 0xbf5db3d7, v77 :: v_dual_sub_f32 v69, v89, v72
	v_dual_add_f32 v88, v2, v9 :: v_dual_add_f32 v45, v47, v50
	v_dual_sub_f32 v47, v47, v50 :: v_dual_add_f32 v50, v89, v72
	v_add_f32_e32 v13, v57, v73
	v_add_f32_e32 v72, v81, v79
	v_sub_f32_e32 v23, v57, v73
	v_add_f32_e32 v57, v3, v7
	v_add_f32_e32 v79, v10, v80
	s_delay_alu instid0(VALU_DEP_4) | instskip(SKIP_1) | instid1(VALU_DEP_4)
	v_dual_add_f32 v81, v4, v10 :: v_dual_add_f32 v70, v11, v72
	v_sub_f32_e32 v72, v11, v72
	v_fma_f32 v11, -0.5, v57, v0
	v_add_f32_e32 v57, v9, v8
	v_sub_f32_e32 v10, v10, v80
	v_fmac_f32_e32 v76, 0.5, v77
	v_dual_add_f32 v77, v6, v5 :: v_dual_fmac_f32 v4, -0.5, v79
	s_delay_alu instid0(VALU_DEP_4) | instskip(SKIP_2) | instid1(VALU_DEP_3)
	v_dual_fmac_f32 v2, -0.5, v57 :: v_dual_sub_f32 v9, v9, v8
	v_dual_add_f32 v71, v51, v74 :: v_dual_fmac_f32 v78, 0.5, v75
	v_sub_f32_e32 v73, v51, v74
	v_fmamk_f32 v57, v10, 0xbf5db3d7, v2
	v_dual_fmac_f32 v2, 0x3f5db3d7, v10 :: v_dual_sub_f32 v51, v6, v5
	v_dual_add_f32 v6, v1, v6 :: v_dual_fmac_f32 v1, -0.5, v77
	v_fmamk_f32 v77, v9, 0x3f5db3d7, v4
	v_fmac_f32_e32 v4, 0xbf5db3d7, v9
	v_sub_f32_e32 v10, v3, v7
	v_add_f32_e32 v0, v0, v3
	v_add_f32_e32 v74, v90, v76
	v_dual_sub_f32 v9, v90, v76 :: v_dual_mul_f32 v76, -0.5, v2
	s_delay_alu instid0(VALU_DEP_4) | instskip(NEXT) | instid1(VALU_DEP_4)
	v_dual_mul_f32 v89, -0.5, v4 :: v_dual_fmamk_f32 v90, v10, 0xbf5db3d7, v1
	v_dual_fmac_f32 v1, 0x3f5db3d7, v10 :: v_dual_add_f32 v0, v0, v7
	v_dual_add_f32 v7, v81, v80 :: v_dual_mul_f32 v80, 0xbf5db3d7, v77
	v_dual_add_f32 v8, v88, v8 :: v_dual_add_f32 v75, v91, v78
	v_sub_f32_e32 v10, v91, v78
	v_mul_f32_e32 v78, 0x3f5db3d7, v57
	v_fmac_f32_e32 v76, 0xbf5db3d7, v4
	v_fmamk_f32 v79, v51, 0x3f5db3d7, v11
	v_fmac_f32_e32 v11, 0xbf5db3d7, v51
	v_fmac_f32_e32 v89, 0x3f5db3d7, v2
	v_add_f32_e32 v51, v6, v5
	v_fmac_f32_e32 v78, 0.5, v77
	v_fmac_f32_e32 v80, 0.5, v57
	v_dual_sub_f32 v4, v1, v76 :: v_dual_add_f32 v5, v0, v7
	v_dual_add_f32 v2, v1, v76 :: v_dual_add_f32 v1, v11, v89
	v_sub_f32_e32 v3, v11, v89
	v_dual_add_f32 v6, v51, v8 :: v_dual_sub_f32 v7, v0, v7
	v_sub_f32_e32 v8, v51, v8
	v_add_f32_e32 v76, v79, v78
	v_dual_sub_f32 v78, v79, v78 :: v_dual_add_f32 v77, v90, v80
	v_sub_f32_e32 v79, v90, v80
	ds_store_b64 v82, v[25:26]
	ds_store_b64 v82, v[29:30] offset:4320
	ds_store_b64 v82, v[17:18] offset:8640
	ds_store_b64 v82, v[27:28] offset:12960
	ds_store_b64 v82, v[31:32] offset:17280
	ds_store_b64 v82, v[19:20] offset:21600
	ds_store_b64 v99, v[35:36]
	ds_store_b64 v99, v[39:40] offset:4320
	ds_store_b64 v99, v[33:34] offset:8640
	ds_store_b64 v99, v[37:38] offset:12960
	ds_store_b64 v99, v[41:42] offset:17280
	ds_store_b64 v99, v[15:16] offset:21600
	;; [unrolled: 6-line block ×5, first 2 shown]
	global_wb scope:SCOPE_SE
	s_wait_dscnt 0x0
	s_barrier_signal -1
	s_barrier_wait -1
	global_inv scope:SCOPE_SE
	ds_load_b64 v[4:5], v82
	v_sub_nc_u32_e32 v6, 0, v53
                                        ; implicit-def: $vgpr3
                                        ; implicit-def: $vgpr13
                                        ; implicit-def: $vgpr0_vgpr1
	v_cmpx_ne_u32_e32 0, v52
	s_wait_alu 0xfffe
	s_xor_b32 s1, exec_lo, s1
	s_cbranch_execz .LBB0_15
; %bb.14:
	ds_load_b64 v[2:3], v6 offset:25920
	s_wait_dscnt 0x0
	v_dual_mov_b32 v53, v12 :: v_dual_add_f32 v8, v3, v5
	s_delay_alu instid0(VALU_DEP_1) | instskip(SKIP_1) | instid1(VALU_DEP_3)
	v_lshlrev_b64_e32 v[0:1], 3, v[52:53]
	v_dual_sub_f32 v7, v4, v2 :: v_dual_add_f32 v2, v2, v4
	v_dual_sub_f32 v3, v5, v3 :: v_dual_mul_f32 v4, 0.5, v8
	s_delay_alu instid0(VALU_DEP_3) | instskip(SKIP_1) | instid1(VALU_DEP_4)
	v_add_co_u32 v0, s0, s8, v0
	s_wait_alu 0xf1ff
	v_add_co_ci_u32_e64 v1, s0, s9, v1, s0
	v_mul_f32_e32 v5, 0.5, v7
	v_mul_f32_e32 v3, 0.5, v3
	global_load_b64 v[0:1], v[0:1], off offset:25896
	s_wait_loadcnt 0x0
	v_mul_f32_e32 v7, v1, v5
	v_fma_f32 v8, v4, v1, v3
	v_fma_f32 v1, v4, v1, -v3
	s_delay_alu instid0(VALU_DEP_3) | instskip(SKIP_1) | instid1(VALU_DEP_4)
	v_fma_f32 v9, 0.5, v2, v7
	v_fma_f32 v2, v2, 0.5, -v7
	v_fma_f32 v13, -v0, v5, v8
	s_delay_alu instid0(VALU_DEP_4) | instskip(NEXT) | instid1(VALU_DEP_4)
	v_fma_f32 v3, -v0, v5, v1
	v_fmac_f32_e32 v9, v0, v4
	s_delay_alu instid0(VALU_DEP_4)
	v_fma_f32 v2, -v0, v4, v2
	v_dual_mov_b32 v0, v52 :: v_dual_mov_b32 v1, v53
                                        ; implicit-def: $vgpr4_vgpr5
	ds_store_b32 v82, v9
.LBB0_15:
	s_wait_alu 0xfffe
	s_or_saveexec_b32 s0, s1
	v_sub_nc_u32_e32 v11, 0, v106
	v_sub_nc_u32_e32 v10, 0, v107
	;; [unrolled: 1-line block ×5, first 2 shown]
	s_wait_alu 0xfffe
	s_xor_b32 exec_lo, exec_lo, s0
	s_cbranch_execz .LBB0_17
; %bb.16:
	s_wait_dscnt 0x0
	v_dual_mov_b32 v13, 0 :: v_dual_add_f32 v12, v4, v5
	v_sub_f32_e32 v2, v4, v5
	ds_load_b32 v0, v13 offset:12964
	v_mov_b32_e32 v3, v13
	s_wait_dscnt 0x0
	v_xor_b32_e32 v4, 0x80000000, v0
	v_mov_b32_e32 v0, 0
	v_mov_b32_e32 v1, 0
	ds_store_b32 v82, v12
	ds_store_b32 v13, v4 offset:12964
.LBB0_17:
	s_or_b32 exec_lo, exec_lo, s0
	v_mov_b32_e32 v57, 0
	v_lshlrev_b64_e32 v[0:1], 3, v[0:1]
	v_add_nc_u32_e32 v9, v85, v9
	v_add_nc_u32_e32 v7, v83, v7
	;; [unrolled: 1-line block ×3, first 2 shown]
	s_wait_dscnt 0x0
	v_lshlrev_b64_e32 v[4:5], 3, v[56:57]
	v_mov_b32_e32 v68, v57
	s_delay_alu instid0(VALU_DEP_2) | instskip(SKIP_1) | instid1(VALU_DEP_3)
	v_add_co_u32 v4, s0, s8, v4
	s_wait_alu 0xf1ff
	v_add_co_ci_u32_e64 v5, s0, s9, v5, s0
	s_delay_alu instid0(VALU_DEP_3)
	v_lshlrev_b64_e32 v[14:15], 3, v[67:68]
	v_mov_b32_e32 v67, v57
	global_load_b64 v[4:5], v[4:5], off offset:25896
	v_add_co_u32 v14, s0, s8, v14
	s_wait_alu 0xf1ff
	v_add_co_ci_u32_e64 v15, s0, s9, v15, s0
	v_lshlrev_b64_e32 v[16:17], 3, v[66:67]
	v_mov_b32_e32 v66, v57
	global_load_b64 v[14:15], v[14:15], off offset:25896
	v_add_co_u32 v16, s0, s8, v16
	s_wait_alu 0xf1ff
	v_add_co_ci_u32_e64 v17, s0, s9, v17, s0
	;; [unrolled: 6-line block ×5, first 2 shown]
	v_lshlrev_b64_e32 v[24:25], 3, v[62:63]
	global_load_b64 v[22:23], v[22:23], off offset:25896
	ds_store_b32 v82, v13 offset:4
	ds_store_b64 v6, v[2:3] offset:25920
	v_add_co_u32 v2, s0, s8, v24
	s_wait_alu 0xf1ff
	v_add_co_ci_u32_e64 v3, s0, s9, v25, s0
	ds_load_b64 v[12:13], v99
	ds_load_b64 v[24:25], v6 offset:25056
	global_load_b64 v[2:3], v[2:3], off offset:25896
	s_wait_dscnt 0x0
	v_dual_sub_f32 v26, v12, v24 :: v_dual_add_f32 v27, v13, v25
	v_dual_sub_f32 v13, v13, v25 :: v_dual_add_f32 v24, v12, v24
	v_mov_b32_e32 v62, v57
	s_delay_alu instid0(VALU_DEP_3) | instskip(SKIP_1) | instid1(VALU_DEP_1)
	v_dual_mul_f32 v26, 0.5, v26 :: v_dual_mul_f32 v27, 0.5, v27
	s_wait_loadcnt 0x6
	v_mul_f32_e32 v25, v5, v26
	s_delay_alu instid0(VALU_DEP_1) | instskip(SKIP_3) | instid1(VALU_DEP_4)
	v_fma_f32 v12, 0.5, v24, v25
	v_mul_f32_e32 v13, 0.5, v13
	v_fma_f32 v29, v24, 0.5, -v25
	v_lshlrev_b64_e32 v[24:25], 3, v[61:62]
	v_fmac_f32_e32 v12, v4, v27
	s_delay_alu instid0(VALU_DEP_4) | instskip(SKIP_1) | instid1(VALU_DEP_4)
	v_fma_f32 v28, v27, v5, v13
	v_fma_f32 v5, v27, v5, -v13
	v_add_co_u32 v24, s0, s8, v24
	s_delay_alu instid0(VALU_DEP_3) | instskip(NEXT) | instid1(VALU_DEP_3)
	v_fma_f32 v13, -v4, v26, v28
	v_fma_f32 v5, -v4, v26, v5
	;; [unrolled: 1-line block ×3, first 2 shown]
	ds_store_b64 v99, v[12:13]
	ds_store_b64 v6, v[4:5] offset:25056
	ds_load_b64 v[4:5], v96
	ds_load_b64 v[12:13], v6 offset:24192
	s_wait_alu 0xf1ff
	v_add_co_ci_u32_e64 v25, s0, s9, v25, s0
	global_load_b64 v[24:25], v[24:25], off offset:25896
	s_wait_dscnt 0x0
	v_dual_sub_f32 v26, v4, v12 :: v_dual_add_f32 v27, v5, v13
	v_dual_sub_f32 v5, v5, v13 :: v_dual_add_f32 v12, v4, v12
	s_delay_alu instid0(VALU_DEP_2) | instskip(SKIP_1) | instid1(VALU_DEP_1)
	v_dual_mul_f32 v26, 0.5, v26 :: v_dual_mul_f32 v27, 0.5, v27
	s_wait_loadcnt 0x6
	v_mul_f32_e32 v13, v15, v26
	s_delay_alu instid0(VALU_DEP_1) | instskip(SKIP_2) | instid1(VALU_DEP_3)
	v_fma_f32 v4, 0.5, v12, v13
	v_mul_f32_e32 v5, 0.5, v5
	v_fma_f32 v29, v12, 0.5, -v13
	v_fmac_f32_e32 v4, v14, v27
	s_delay_alu instid0(VALU_DEP_3) | instskip(SKIP_1) | instid1(VALU_DEP_2)
	v_fma_f32 v28, v27, v15, v5
	v_fma_f32 v15, v27, v15, -v5
	v_fma_f32 v5, -v14, v26, v28
	s_delay_alu instid0(VALU_DEP_2)
	v_fma_f32 v15, -v14, v26, v15
	v_fma_f32 v14, -v14, v27, v29
	ds_store_b64 v96, v[4:5]
	ds_store_b64 v6, v[14:15] offset:24192
	ds_load_b64 v[4:5], v95
	ds_load_b64 v[14:15], v6 offset:23328
	s_wait_dscnt 0x0
	v_dual_mov_b32 v61, v57 :: v_dual_sub_f32 v26, v4, v14
	v_add_f32_e32 v14, v4, v14
	s_delay_alu instid0(VALU_DEP_2) | instskip(SKIP_3) | instid1(VALU_DEP_4)
	v_lshlrev_b64_e32 v[12:13], 3, v[60:61]
	v_add_f32_e32 v27, v5, v15
	v_sub_f32_e32 v5, v5, v15
	v_mul_f32_e32 v15, 0.5, v26
	v_add_co_u32 v12, s0, s8, v12
	s_wait_alu 0xf1ff
	v_add_co_ci_u32_e64 v13, s0, s9, v13, s0
	v_dual_mul_f32 v26, 0.5, v27 :: v_dual_mul_f32 v5, 0.5, v5
	s_wait_loadcnt 0x5
	v_mul_f32_e32 v27, v17, v15
	global_load_b64 v[12:13], v[12:13], off offset:25896
	s_add_nc_u64 s[0:1], s[8:9], 0x6528
	s_wait_alu 0xfffe
	v_add_co_u32 v0, s0, s0, v0
	v_fma_f32 v28, v26, v17, v5
	v_fma_f32 v17, v26, v17, -v5
	v_fma_f32 v4, 0.5, v14, v27
	v_fma_f32 v14, v14, 0.5, -v27
	s_wait_alu 0xf1ff
	v_add_co_ci_u32_e64 v1, s0, s1, v1, s0
	v_fma_f32 v5, -v16, v15, v28
	v_fma_f32 v15, -v16, v15, v17
	v_fmac_f32_e32 v4, v16, v26
	v_fma_f32 v14, -v16, v26, v14
	global_load_b64 v[16:17], v[0:1], off offset:8640
	ds_store_b64 v95, v[4:5]
	ds_store_b64 v6, v[14:15] offset:23328
	ds_load_b64 v[4:5], v92
	ds_load_b64 v[14:15], v6 offset:22464
	s_wait_dscnt 0x0
	v_dual_sub_f32 v26, v4, v14 :: v_dual_add_f32 v27, v5, v15
	v_dual_sub_f32 v5, v5, v15 :: v_dual_add_f32 v14, v4, v14
	s_delay_alu instid0(VALU_DEP_2) | instskip(NEXT) | instid1(VALU_DEP_2)
	v_dual_mul_f32 v15, 0.5, v26 :: v_dual_mul_f32 v26, 0.5, v27
	v_mul_f32_e32 v5, 0.5, v5
	s_wait_loadcnt 0x6
	s_delay_alu instid0(VALU_DEP_2) | instskip(NEXT) | instid1(VALU_DEP_2)
	v_mul_f32_e32 v27, v19, v15
	v_fma_f32 v28, v26, v19, v5
	v_fma_f32 v19, v26, v19, -v5
	s_delay_alu instid0(VALU_DEP_3) | instskip(SKIP_1) | instid1(VALU_DEP_2)
	v_fma_f32 v4, 0.5, v14, v27
	v_fma_f32 v14, v14, 0.5, -v27
	v_fmac_f32_e32 v4, v18, v26
	s_delay_alu instid0(VALU_DEP_2)
	v_fma_f32 v14, -v18, v26, v14
	v_add_nc_u32_e32 v26, v87, v11
	v_fma_f32 v5, -v18, v15, v28
	v_fma_f32 v15, -v18, v15, v19
	global_load_b64 v[18:19], v[0:1], off offset:9504
	ds_store_b64 v92, v[4:5]
	ds_store_b64 v6, v[14:15] offset:22464
	ds_load_b64 v[4:5], v26
	ds_load_b64 v[14:15], v6 offset:21600
	s_wait_dscnt 0x0
	v_sub_f32_e32 v11, v4, v14
	v_add_f32_e32 v27, v5, v15
	v_dual_sub_f32 v5, v5, v15 :: v_dual_add_f32 v14, v4, v14
	s_delay_alu instid0(VALU_DEP_3) | instskip(NEXT) | instid1(VALU_DEP_3)
	v_mul_f32_e32 v11, 0.5, v11
	v_mul_f32_e32 v27, 0.5, v27
	s_delay_alu instid0(VALU_DEP_3) | instskip(SKIP_1) | instid1(VALU_DEP_3)
	v_mul_f32_e32 v5, 0.5, v5
	s_wait_loadcnt 0x6
	v_mul_f32_e32 v15, v21, v11
	s_delay_alu instid0(VALU_DEP_2) | instskip(SKIP_1) | instid1(VALU_DEP_3)
	v_fma_f32 v28, v27, v21, v5
	v_fma_f32 v21, v27, v21, -v5
	v_fma_f32 v4, 0.5, v14, v15
	v_fma_f32 v14, v14, 0.5, -v15
	s_delay_alu instid0(VALU_DEP_4) | instskip(NEXT) | instid1(VALU_DEP_4)
	v_fma_f32 v5, -v20, v11, v28
	v_fma_f32 v15, -v20, v11, v21
	s_delay_alu instid0(VALU_DEP_4) | instskip(NEXT) | instid1(VALU_DEP_4)
	v_fmac_f32_e32 v4, v20, v27
	v_fma_f32 v14, -v20, v27, v14
	v_add_nc_u32_e32 v27, v86, v10
	global_load_b64 v[10:11], v[0:1], off offset:10368
	ds_store_b64 v26, v[4:5]
	ds_store_b64 v6, v[14:15] offset:21600
	ds_load_b64 v[4:5], v27
	ds_load_b64 v[14:15], v6 offset:20736
	s_wait_dscnt 0x0
	v_dual_sub_f32 v20, v4, v14 :: v_dual_add_f32 v21, v5, v15
	v_dual_sub_f32 v5, v5, v15 :: v_dual_add_f32 v14, v4, v14
	s_delay_alu instid0(VALU_DEP_2) | instskip(NEXT) | instid1(VALU_DEP_2)
	v_dual_mul_f32 v15, 0.5, v20 :: v_dual_mul_f32 v20, 0.5, v21
	v_mul_f32_e32 v5, 0.5, v5
	s_wait_loadcnt 0x6
	s_delay_alu instid0(VALU_DEP_2) | instskip(NEXT) | instid1(VALU_DEP_2)
	v_mul_f32_e32 v21, v23, v15
	v_fma_f32 v26, v20, v23, v5
	v_fma_f32 v23, v20, v23, -v5
	s_delay_alu instid0(VALU_DEP_3) | instskip(SKIP_1) | instid1(VALU_DEP_4)
	v_fma_f32 v4, 0.5, v14, v21
	v_fma_f32 v14, v14, 0.5, -v21
	v_fma_f32 v5, -v22, v15, v26
	s_delay_alu instid0(VALU_DEP_4) | instskip(NEXT) | instid1(VALU_DEP_4)
	v_fma_f32 v15, -v22, v15, v23
	v_fmac_f32_e32 v4, v22, v20
	s_delay_alu instid0(VALU_DEP_4)
	v_fma_f32 v14, -v22, v20, v14
	global_load_b64 v[20:21], v[0:1], off offset:11232
	ds_store_b64 v27, v[4:5]
	ds_store_b64 v6, v[14:15] offset:20736
	ds_load_b64 v[4:5], v9
	ds_load_b64 v[14:15], v6 offset:19872
	global_load_b64 v[0:1], v[0:1], off offset:12096
	s_wait_dscnt 0x0
	v_dual_sub_f32 v22, v4, v14 :: v_dual_add_f32 v23, v5, v15
	v_dual_sub_f32 v5, v5, v15 :: v_dual_add_f32 v4, v4, v14
	s_delay_alu instid0(VALU_DEP_2) | instskip(SKIP_1) | instid1(VALU_DEP_1)
	v_dual_mul_f32 v15, 0.5, v22 :: v_dual_mul_f32 v22, 0.5, v23
	s_wait_loadcnt 0x7
	v_dual_mul_f32 v5, 0.5, v5 :: v_dual_mul_f32 v14, v3, v15
	s_delay_alu instid0(VALU_DEP_1) | instskip(SKIP_1) | instid1(VALU_DEP_3)
	v_fma_f32 v23, v22, v3, v5
	v_fma_f32 v5, v22, v3, -v5
	v_fma_f32 v3, 0.5, v4, v14
	v_fma_f32 v14, v4, 0.5, -v14
	s_delay_alu instid0(VALU_DEP_4) | instskip(NEXT) | instid1(VALU_DEP_4)
	v_fma_f32 v4, -v2, v15, v23
	v_fma_f32 v15, -v2, v15, v5
	s_delay_alu instid0(VALU_DEP_4) | instskip(NEXT) | instid1(VALU_DEP_4)
	v_fmac_f32_e32 v3, v2, v22
	v_fma_f32 v14, -v2, v22, v14
	ds_store_b64 v9, v[3:4]
	ds_store_b64 v6, v[14:15] offset:19872
	ds_load_b64 v[2:3], v8
	ds_load_b64 v[4:5], v6 offset:19008
	s_wait_dscnt 0x0
	v_dual_sub_f32 v9, v2, v4 :: v_dual_add_f32 v14, v3, v5
	v_dual_sub_f32 v3, v3, v5 :: v_dual_add_f32 v4, v2, v4
	s_delay_alu instid0(VALU_DEP_2) | instskip(NEXT) | instid1(VALU_DEP_3)
	v_mul_f32_e32 v5, 0.5, v9
	v_mul_f32_e32 v9, 0.5, v14
	s_wait_loadcnt 0x6
	s_delay_alu instid0(VALU_DEP_2) | instskip(NEXT) | instid1(VALU_DEP_1)
	v_dual_mul_f32 v3, 0.5, v3 :: v_dual_mul_f32 v14, v25, v5
	v_fma_f32 v15, v9, v25, v3
	v_fma_f32 v22, v9, v25, -v3
	s_delay_alu instid0(VALU_DEP_3) | instskip(SKIP_1) | instid1(VALU_DEP_4)
	v_fma_f32 v2, 0.5, v4, v14
	v_fma_f32 v4, v4, 0.5, -v14
	v_fma_f32 v3, -v24, v5, v15
	s_delay_alu instid0(VALU_DEP_4) | instskip(NEXT) | instid1(VALU_DEP_4)
	v_fma_f32 v5, -v24, v5, v22
	v_fmac_f32_e32 v2, v24, v9
	s_delay_alu instid0(VALU_DEP_4)
	v_fma_f32 v4, -v24, v9, v4
	ds_store_b64 v8, v[2:3]
	ds_store_b64 v6, v[4:5] offset:19008
	ds_load_b64 v[2:3], v7
	ds_load_b64 v[4:5], v6 offset:18144
	s_wait_dscnt 0x0
	v_dual_sub_f32 v8, v2, v4 :: v_dual_add_f32 v9, v3, v5
	v_dual_sub_f32 v3, v3, v5 :: v_dual_add_f32 v4, v2, v4
	s_delay_alu instid0(VALU_DEP_2) | instskip(NEXT) | instid1(VALU_DEP_2)
	v_dual_mul_f32 v5, 0.5, v8 :: v_dual_mul_f32 v8, 0.5, v9
	v_mul_f32_e32 v3, 0.5, v3
	s_wait_loadcnt 0x5
	s_delay_alu instid0(VALU_DEP_2) | instskip(NEXT) | instid1(VALU_DEP_2)
	v_mul_f32_e32 v9, v13, v5
	v_fma_f32 v14, v8, v13, v3
	v_fma_f32 v13, v8, v13, -v3
	s_delay_alu instid0(VALU_DEP_3) | instskip(SKIP_1) | instid1(VALU_DEP_4)
	v_fma_f32 v2, 0.5, v4, v9
	v_fma_f32 v4, v4, 0.5, -v9
	v_fma_f32 v3, -v12, v5, v14
	s_delay_alu instid0(VALU_DEP_4) | instskip(NEXT) | instid1(VALU_DEP_4)
	v_fma_f32 v5, -v12, v5, v13
	v_fmac_f32_e32 v2, v12, v8
	s_delay_alu instid0(VALU_DEP_4)
	v_fma_f32 v4, -v12, v8, v4
	ds_store_b64 v7, v[2:3]
	ds_store_b64 v6, v[4:5] offset:18144
	ds_load_b64 v[2:3], v82 offset:8640
	ds_load_b64 v[4:5], v6 offset:17280
	s_wait_dscnt 0x0
	v_dual_sub_f32 v7, v2, v4 :: v_dual_add_f32 v8, v3, v5
	v_dual_sub_f32 v3, v3, v5 :: v_dual_add_f32 v4, v2, v4
	s_delay_alu instid0(VALU_DEP_2) | instskip(NEXT) | instid1(VALU_DEP_3)
	v_mul_f32_e32 v5, 0.5, v7
	v_mul_f32_e32 v7, 0.5, v8
	s_wait_loadcnt 0x4
	s_delay_alu instid0(VALU_DEP_2) | instskip(NEXT) | instid1(VALU_DEP_1)
	v_dual_mul_f32 v3, 0.5, v3 :: v_dual_mul_f32 v8, v17, v5
	v_fma_f32 v9, v7, v17, v3
	v_fma_f32 v12, v7, v17, -v3
	s_delay_alu instid0(VALU_DEP_3) | instskip(SKIP_1) | instid1(VALU_DEP_4)
	v_fma_f32 v2, 0.5, v4, v8
	v_fma_f32 v4, v4, 0.5, -v8
	v_fma_f32 v3, -v16, v5, v9
	s_delay_alu instid0(VALU_DEP_4) | instskip(NEXT) | instid1(VALU_DEP_4)
	v_fma_f32 v5, -v16, v5, v12
	v_fmac_f32_e32 v2, v16, v7
	s_delay_alu instid0(VALU_DEP_4)
	v_fma_f32 v4, -v16, v7, v4
	ds_store_b64 v82, v[2:3] offset:8640
	ds_store_b64 v6, v[4:5] offset:17280
	ds_load_b64 v[2:3], v82 offset:9504
	ds_load_b64 v[4:5], v6 offset:16416
	s_wait_dscnt 0x0
	v_dual_sub_f32 v7, v2, v4 :: v_dual_add_f32 v8, v3, v5
	v_dual_sub_f32 v3, v3, v5 :: v_dual_add_f32 v4, v2, v4
	s_delay_alu instid0(VALU_DEP_2) | instskip(NEXT) | instid1(VALU_DEP_3)
	v_mul_f32_e32 v5, 0.5, v7
	v_mul_f32_e32 v7, 0.5, v8
	s_wait_loadcnt 0x3
	s_delay_alu instid0(VALU_DEP_2) | instskip(NEXT) | instid1(VALU_DEP_1)
	v_dual_mul_f32 v3, 0.5, v3 :: v_dual_mul_f32 v8, v19, v5
	v_fma_f32 v9, v7, v19, v3
	v_fma_f32 v12, v7, v19, -v3
	s_delay_alu instid0(VALU_DEP_3) | instskip(SKIP_1) | instid1(VALU_DEP_4)
	v_fma_f32 v2, 0.5, v4, v8
	v_fma_f32 v4, v4, 0.5, -v8
	v_fma_f32 v3, -v18, v5, v9
	s_delay_alu instid0(VALU_DEP_4) | instskip(NEXT) | instid1(VALU_DEP_4)
	v_fma_f32 v5, -v18, v5, v12
	v_fmac_f32_e32 v2, v18, v7
	s_delay_alu instid0(VALU_DEP_4)
	v_fma_f32 v4, -v18, v7, v4
	ds_store_b64 v82, v[2:3] offset:9504
	;; [unrolled: 24-line block ×5, first 2 shown]
	ds_store_b64 v6, v[3:4] offset:13824
	global_wb scope:SCOPE_SE
	s_wait_dscnt 0x0
	s_barrier_signal -1
	s_barrier_wait -1
	global_inv scope:SCOPE_SE
	s_and_saveexec_b32 s0, vcc_lo
	s_cbranch_execz .LBB0_20
; %bb.18:
	v_mul_lo_u32 v2, s3, v58
	v_mul_lo_u32 v3, s2, v59
	v_mad_co_u64_u32 v[0:1], null, s2, v58, 0
	v_lshl_add_u32 v20, v52, 3, 0
	v_dual_mov_b32 v53, v57 :: v_dual_add_nc_u32 v56, 0x6c, v52
	v_lshlrev_b64_e32 v[10:11], 3, v[54:55]
	s_delay_alu instid0(VALU_DEP_3) | instskip(SKIP_1) | instid1(VALU_DEP_4)
	v_add_nc_u32_e32 v6, 0x400, v20
	v_add3_u32 v1, v1, v3, v2
	v_lshlrev_b64_e32 v[12:13], 3, v[52:53]
	ds_load_2addr_b64 v[2:5], v20 offset1:108
	v_lshlrev_b64_e32 v[14:15], 3, v[56:57]
	v_add_nc_u32_e32 v56, 0xd8, v52
	v_lshlrev_b64_e32 v[0:1], 3, v[0:1]
	ds_load_2addr_b64 v[6:9], v6 offset0:88 offset1:196
	v_add_nc_u32_e32 v21, 0xc00, v20
	v_lshlrev_b64_e32 v[16:17], 3, v[56:57]
	v_add_nc_u32_e32 v56, 0x144, v52
	v_add_co_u32 v0, vcc_lo, s6, v0
	s_wait_alu 0xfffd
	v_add_co_ci_u32_e32 v1, vcc_lo, s7, v1, vcc_lo
	s_delay_alu instid0(VALU_DEP_2) | instskip(SKIP_1) | instid1(VALU_DEP_2)
	v_add_co_u32 v0, vcc_lo, v0, v10
	s_wait_alu 0xfffd
	v_add_co_ci_u32_e32 v1, vcc_lo, v1, v11, vcc_lo
	s_delay_alu instid0(VALU_DEP_2) | instskip(SKIP_1) | instid1(VALU_DEP_2)
	v_add_co_u32 v10, vcc_lo, v0, v12
	s_wait_alu 0xfffd
	v_add_co_ci_u32_e32 v11, vcc_lo, v1, v13, vcc_lo
	v_add_co_u32 v12, vcc_lo, v0, v14
	s_wait_alu 0xfffd
	v_add_co_ci_u32_e32 v13, vcc_lo, v1, v15, vcc_lo
	v_lshlrev_b64_e32 v[14:15], 3, v[56:57]
	v_add_co_u32 v16, vcc_lo, v0, v16
	v_add_nc_u32_e32 v56, 0x1b0, v52
	s_wait_alu 0xfffd
	v_add_co_ci_u32_e32 v17, vcc_lo, v1, v17, vcc_lo
	s_delay_alu instid0(VALU_DEP_4)
	v_add_co_u32 v14, vcc_lo, v0, v14
	s_wait_alu 0xfffd
	v_add_co_ci_u32_e32 v15, vcc_lo, v1, v15, vcc_lo
	v_lshlrev_b64_e32 v[18:19], 3, v[56:57]
	v_add_nc_u32_e32 v56, 0x21c, v52
	s_wait_dscnt 0x1
	s_clause 0x1
	global_store_b64 v[10:11], v[2:3], off
	global_store_b64 v[12:13], v[4:5], off
	s_wait_dscnt 0x0
	s_clause 0x1
	global_store_b64 v[16:17], v[6:7], off
	global_store_b64 v[14:15], v[8:9], off
	v_add_nc_u32_e32 v6, 0x1000, v20
	ds_load_2addr_b64 v[2:5], v21 offset0:48 offset1:156
	v_add_nc_u32_e32 v21, 0x1800, v20
	v_lshlrev_b64_e32 v[10:11], 3, v[56:57]
	v_add_nc_u32_e32 v56, 0x288, v52
	ds_load_2addr_b64 v[6:9], v6 offset0:136 offset1:244
	v_add_co_u32 v12, vcc_lo, v0, v18
	s_wait_alu 0xfffd
	v_add_co_ci_u32_e32 v13, vcc_lo, v1, v19, vcc_lo
	v_lshlrev_b64_e32 v[14:15], 3, v[56:57]
	v_add_nc_u32_e32 v56, 0x2f4, v52
	v_add_co_u32 v10, vcc_lo, v0, v10
	s_wait_alu 0xfffd
	v_add_co_ci_u32_e32 v11, vcc_lo, v1, v11, vcc_lo
	s_delay_alu instid0(VALU_DEP_3) | instskip(SKIP_4) | instid1(VALU_DEP_4)
	v_lshlrev_b64_e32 v[16:17], 3, v[56:57]
	v_add_co_u32 v14, vcc_lo, v0, v14
	v_add_nc_u32_e32 v56, 0x360, v52
	s_wait_alu 0xfffd
	v_add_co_ci_u32_e32 v15, vcc_lo, v1, v15, vcc_lo
	v_add_co_u32 v16, vcc_lo, v0, v16
	s_wait_alu 0xfffd
	v_add_co_ci_u32_e32 v17, vcc_lo, v1, v17, vcc_lo
	v_lshlrev_b64_e32 v[18:19], 3, v[56:57]
	v_add_nc_u32_e32 v56, 0x3cc, v52
	s_wait_dscnt 0x1
	s_clause 0x1
	global_store_b64 v[12:13], v[2:3], off
	global_store_b64 v[10:11], v[4:5], off
	s_wait_dscnt 0x0
	s_clause 0x1
	global_store_b64 v[14:15], v[6:7], off
	global_store_b64 v[16:17], v[8:9], off
	v_add_nc_u32_e32 v6, 0x2000, v20
	ds_load_2addr_b64 v[2:5], v21 offset0:96 offset1:204
	v_add_nc_u32_e32 v21, 0x2800, v20
	v_lshlrev_b64_e32 v[10:11], 3, v[56:57]
	v_add_nc_u32_e32 v56, 0x438, v52
	ds_load_2addr_b64 v[6:9], v6 offset0:56 offset1:164
	v_add_co_u32 v12, vcc_lo, v0, v18
	s_wait_alu 0xfffd
	v_add_co_ci_u32_e32 v13, vcc_lo, v1, v19, vcc_lo
	v_lshlrev_b64_e32 v[14:15], 3, v[56:57]
	v_add_nc_u32_e32 v56, 0x4a4, v52
	v_add_co_u32 v10, vcc_lo, v0, v10
	s_wait_alu 0xfffd
	v_add_co_ci_u32_e32 v11, vcc_lo, v1, v11, vcc_lo
	s_delay_alu instid0(VALU_DEP_3) | instskip(SKIP_4) | instid1(VALU_DEP_4)
	v_lshlrev_b64_e32 v[16:17], 3, v[56:57]
	v_add_co_u32 v14, vcc_lo, v0, v14
	v_add_nc_u32_e32 v56, 0x510, v52
	s_wait_alu 0xfffd
	v_add_co_ci_u32_e32 v15, vcc_lo, v1, v15, vcc_lo
	;; [unrolled: 33-line block ×4, first 2 shown]
	v_add_co_u32 v16, vcc_lo, v0, v16
	s_wait_alu 0xfffd
	v_add_co_ci_u32_e32 v17, vcc_lo, v1, v17, vcc_lo
	v_lshlrev_b64_e32 v[18:19], 3, v[56:57]
	v_add_nc_u32_e32 v56, 0x8dc, v52
	s_wait_dscnt 0x1
	s_clause 0x1
	global_store_b64 v[12:13], v[2:3], off
	global_store_b64 v[10:11], v[4:5], off
	s_wait_dscnt 0x0
	s_clause 0x1
	global_store_b64 v[14:15], v[6:7], off
	global_store_b64 v[16:17], v[8:9], off
	v_add_nc_u32_e32 v6, 0x4800, v20
	ds_load_2addr_b64 v[2:5], v21 offset0:112 offset1:220
	v_add_nc_u32_e32 v21, 0x5000, v20
	v_lshlrev_b64_e32 v[10:11], 3, v[56:57]
	v_add_nc_u32_e32 v56, 0x948, v52
	ds_load_2addr_b64 v[6:9], v6 offset0:72 offset1:180
	v_add_co_u32 v12, vcc_lo, v0, v18
	s_wait_alu 0xfffd
	v_add_co_ci_u32_e32 v13, vcc_lo, v1, v19, vcc_lo
	v_lshlrev_b64_e32 v[14:15], 3, v[56:57]
	v_add_nc_u32_e32 v56, 0x9b4, v52
	v_add_co_u32 v10, vcc_lo, v0, v10
	s_wait_alu 0xfffd
	v_add_co_ci_u32_e32 v11, vcc_lo, v1, v11, vcc_lo
	s_delay_alu instid0(VALU_DEP_3) | instskip(SKIP_4) | instid1(VALU_DEP_3)
	v_lshlrev_b64_e32 v[16:17], 3, v[56:57]
	v_add_nc_u32_e32 v56, 0xa20, v52
	v_add_co_u32 v14, vcc_lo, v0, v14
	s_wait_alu 0xfffd
	v_add_co_ci_u32_e32 v15, vcc_lo, v1, v15, vcc_lo
	v_lshlrev_b64_e32 v[18:19], 3, v[56:57]
	v_add_nc_u32_e32 v56, 0xa8c, v52
	v_add_co_u32 v16, vcc_lo, v0, v16
	s_wait_alu 0xfffd
	v_add_co_ci_u32_e32 v17, vcc_lo, v1, v17, vcc_lo
	s_wait_dscnt 0x1
	s_clause 0x1
	global_store_b64 v[12:13], v[2:3], off
	global_store_b64 v[10:11], v[4:5], off
	s_wait_dscnt 0x0
	s_clause 0x1
	global_store_b64 v[14:15], v[6:7], off
	global_store_b64 v[16:17], v[8:9], off
	v_lshlrev_b64_e32 v[6:7], 3, v[56:57]
	v_add_nc_u32_e32 v56, 0xaf8, v52
	v_add_co_u32 v14, vcc_lo, v0, v18
	s_wait_alu 0xfffd
	v_add_co_ci_u32_e32 v15, vcc_lo, v1, v19, vcc_lo
	s_delay_alu instid0(VALU_DEP_3) | instskip(SKIP_4) | instid1(VALU_DEP_4)
	v_lshlrev_b64_e32 v[10:11], 3, v[56:57]
	v_add_nc_u32_e32 v56, 0xb64, v52
	v_add_nc_u32_e32 v8, 0x5400, v20
	v_add_co_u32 v16, vcc_lo, v0, v6
	v_add_nc_u32_e32 v12, 0x5c00, v20
	v_lshlrev_b64_e32 v[18:19], 3, v[56:57]
	v_add_nc_u32_e32 v56, 0xbd0, v52
	ds_load_2addr_b64 v[2:5], v21 offset0:32 offset1:140
	s_wait_alu 0xfffd
	v_add_co_ci_u32_e32 v17, vcc_lo, v1, v7, vcc_lo
	ds_load_2addr_b64 v[6:9], v8 offset0:120 offset1:228
	v_lshlrev_b64_e32 v[22:23], 3, v[56:57]
	v_add_nc_u32_e32 v56, 0xc3c, v52
	v_add_co_u32 v20, vcc_lo, v0, v10
	s_wait_alu 0xfffd
	v_add_co_ci_u32_e32 v21, vcc_lo, v1, v11, vcc_lo
	ds_load_2addr_b64 v[10:13], v12 offset0:80 offset1:188
	v_add_co_u32 v18, vcc_lo, v0, v18
	v_lshlrev_b64_e32 v[24:25], 3, v[56:57]
	s_wait_alu 0xfffd
	v_add_co_ci_u32_e32 v19, vcc_lo, v1, v19, vcc_lo
	v_add_co_u32 v22, vcc_lo, v0, v22
	s_wait_alu 0xfffd
	v_add_co_ci_u32_e32 v23, vcc_lo, v1, v23, vcc_lo
	v_add_co_u32 v24, vcc_lo, v0, v24
	s_wait_alu 0xfffd
	v_add_co_ci_u32_e32 v25, vcc_lo, v1, v25, vcc_lo
	v_cmp_eq_u32_e32 vcc_lo, 0x6b, v52
	s_wait_dscnt 0x2
	s_clause 0x1
	global_store_b64 v[14:15], v[2:3], off
	global_store_b64 v[16:17], v[4:5], off
	s_wait_dscnt 0x1
	s_clause 0x1
	global_store_b64 v[20:21], v[6:7], off
	global_store_b64 v[18:19], v[8:9], off
	;; [unrolled: 4-line block ×3, first 2 shown]
	s_and_b32 exec_lo, exec_lo, vcc_lo
	s_cbranch_execz .LBB0_20
; %bb.19:
	v_mov_b32_e32 v2, 0
	ds_load_b64 v[2:3], v2 offset:25920
	s_wait_dscnt 0x0
	global_store_b64 v[0:1], v[2:3], off offset:25920
.LBB0_20:
	s_nop 0
	s_sendmsg sendmsg(MSG_DEALLOC_VGPRS)
	s_endpgm
	.section	.rodata,"a",@progbits
	.p2align	6, 0x0
	.amdhsa_kernel fft_rtc_fwd_len3240_factors_3_3_10_6_6_wgs_108_tpt_108_halfLds_sp_op_CI_CI_unitstride_sbrr_R2C_dirReg
		.amdhsa_group_segment_fixed_size 0
		.amdhsa_private_segment_fixed_size 0
		.amdhsa_kernarg_size 104
		.amdhsa_user_sgpr_count 2
		.amdhsa_user_sgpr_dispatch_ptr 0
		.amdhsa_user_sgpr_queue_ptr 0
		.amdhsa_user_sgpr_kernarg_segment_ptr 1
		.amdhsa_user_sgpr_dispatch_id 0
		.amdhsa_user_sgpr_private_segment_size 0
		.amdhsa_wavefront_size32 1
		.amdhsa_uses_dynamic_stack 0
		.amdhsa_enable_private_segment 0
		.amdhsa_system_sgpr_workgroup_id_x 1
		.amdhsa_system_sgpr_workgroup_id_y 0
		.amdhsa_system_sgpr_workgroup_id_z 0
		.amdhsa_system_sgpr_workgroup_info 0
		.amdhsa_system_vgpr_workitem_id 0
		.amdhsa_next_free_vgpr 142
		.amdhsa_next_free_sgpr 39
		.amdhsa_reserve_vcc 1
		.amdhsa_float_round_mode_32 0
		.amdhsa_float_round_mode_16_64 0
		.amdhsa_float_denorm_mode_32 3
		.amdhsa_float_denorm_mode_16_64 3
		.amdhsa_fp16_overflow 0
		.amdhsa_workgroup_processor_mode 1
		.amdhsa_memory_ordered 1
		.amdhsa_forward_progress 0
		.amdhsa_round_robin_scheduling 0
		.amdhsa_exception_fp_ieee_invalid_op 0
		.amdhsa_exception_fp_denorm_src 0
		.amdhsa_exception_fp_ieee_div_zero 0
		.amdhsa_exception_fp_ieee_overflow 0
		.amdhsa_exception_fp_ieee_underflow 0
		.amdhsa_exception_fp_ieee_inexact 0
		.amdhsa_exception_int_div_zero 0
	.end_amdhsa_kernel
	.text
.Lfunc_end0:
	.size	fft_rtc_fwd_len3240_factors_3_3_10_6_6_wgs_108_tpt_108_halfLds_sp_op_CI_CI_unitstride_sbrr_R2C_dirReg, .Lfunc_end0-fft_rtc_fwd_len3240_factors_3_3_10_6_6_wgs_108_tpt_108_halfLds_sp_op_CI_CI_unitstride_sbrr_R2C_dirReg
                                        ; -- End function
	.section	.AMDGPU.csdata,"",@progbits
; Kernel info:
; codeLenInByte = 20928
; NumSgprs: 41
; NumVgprs: 142
; ScratchSize: 0
; MemoryBound: 0
; FloatMode: 240
; IeeeMode: 1
; LDSByteSize: 0 bytes/workgroup (compile time only)
; SGPRBlocks: 5
; VGPRBlocks: 17
; NumSGPRsForWavesPerEU: 41
; NumVGPRsForWavesPerEU: 142
; Occupancy: 10
; WaveLimiterHint : 1
; COMPUTE_PGM_RSRC2:SCRATCH_EN: 0
; COMPUTE_PGM_RSRC2:USER_SGPR: 2
; COMPUTE_PGM_RSRC2:TRAP_HANDLER: 0
; COMPUTE_PGM_RSRC2:TGID_X_EN: 1
; COMPUTE_PGM_RSRC2:TGID_Y_EN: 0
; COMPUTE_PGM_RSRC2:TGID_Z_EN: 0
; COMPUTE_PGM_RSRC2:TIDIG_COMP_CNT: 0
	.text
	.p2alignl 7, 3214868480
	.fill 96, 4, 3214868480
	.type	__hip_cuid_835b721c34ff9e56,@object ; @__hip_cuid_835b721c34ff9e56
	.section	.bss,"aw",@nobits
	.globl	__hip_cuid_835b721c34ff9e56
__hip_cuid_835b721c34ff9e56:
	.byte	0                               ; 0x0
	.size	__hip_cuid_835b721c34ff9e56, 1

	.ident	"AMD clang version 19.0.0git (https://github.com/RadeonOpenCompute/llvm-project roc-6.4.0 25133 c7fe45cf4b819c5991fe208aaa96edf142730f1d)"
	.section	".note.GNU-stack","",@progbits
	.addrsig
	.addrsig_sym __hip_cuid_835b721c34ff9e56
	.amdgpu_metadata
---
amdhsa.kernels:
  - .args:
      - .actual_access:  read_only
        .address_space:  global
        .offset:         0
        .size:           8
        .value_kind:     global_buffer
      - .offset:         8
        .size:           8
        .value_kind:     by_value
      - .actual_access:  read_only
        .address_space:  global
        .offset:         16
        .size:           8
        .value_kind:     global_buffer
      - .actual_access:  read_only
        .address_space:  global
        .offset:         24
        .size:           8
        .value_kind:     global_buffer
      - .actual_access:  read_only
        .address_space:  global
        .offset:         32
        .size:           8
        .value_kind:     global_buffer
      - .offset:         40
        .size:           8
        .value_kind:     by_value
      - .actual_access:  read_only
        .address_space:  global
        .offset:         48
        .size:           8
        .value_kind:     global_buffer
      - .actual_access:  read_only
        .address_space:  global
        .offset:         56
        .size:           8
        .value_kind:     global_buffer
      - .offset:         64
        .size:           4
        .value_kind:     by_value
      - .actual_access:  read_only
        .address_space:  global
        .offset:         72
        .size:           8
        .value_kind:     global_buffer
      - .actual_access:  read_only
        .address_space:  global
        .offset:         80
        .size:           8
        .value_kind:     global_buffer
      - .actual_access:  read_only
        .address_space:  global
        .offset:         88
        .size:           8
        .value_kind:     global_buffer
      - .actual_access:  write_only
        .address_space:  global
        .offset:         96
        .size:           8
        .value_kind:     global_buffer
    .group_segment_fixed_size: 0
    .kernarg_segment_align: 8
    .kernarg_segment_size: 104
    .language:       OpenCL C
    .language_version:
      - 2
      - 0
    .max_flat_workgroup_size: 108
    .name:           fft_rtc_fwd_len3240_factors_3_3_10_6_6_wgs_108_tpt_108_halfLds_sp_op_CI_CI_unitstride_sbrr_R2C_dirReg
    .private_segment_fixed_size: 0
    .sgpr_count:     41
    .sgpr_spill_count: 0
    .symbol:         fft_rtc_fwd_len3240_factors_3_3_10_6_6_wgs_108_tpt_108_halfLds_sp_op_CI_CI_unitstride_sbrr_R2C_dirReg.kd
    .uniform_work_group_size: 1
    .uses_dynamic_stack: false
    .vgpr_count:     142
    .vgpr_spill_count: 0
    .wavefront_size: 32
    .workgroup_processor_mode: 1
amdhsa.target:   amdgcn-amd-amdhsa--gfx1201
amdhsa.version:
  - 1
  - 2
...

	.end_amdgpu_metadata
